;; amdgpu-corpus repo=ROCm/rocFFT kind=compiled arch=gfx906 opt=O3
	.text
	.amdgcn_target "amdgcn-amd-amdhsa--gfx906"
	.amdhsa_code_object_version 6
	.protected	fft_rtc_fwd_len1870_factors_17_10_11_wgs_187_tpt_187_halfLds_dp_op_CI_CI_unitstride_sbrr_dirReg ; -- Begin function fft_rtc_fwd_len1870_factors_17_10_11_wgs_187_tpt_187_halfLds_dp_op_CI_CI_unitstride_sbrr_dirReg
	.globl	fft_rtc_fwd_len1870_factors_17_10_11_wgs_187_tpt_187_halfLds_dp_op_CI_CI_unitstride_sbrr_dirReg
	.p2align	8
	.type	fft_rtc_fwd_len1870_factors_17_10_11_wgs_187_tpt_187_halfLds_dp_op_CI_CI_unitstride_sbrr_dirReg,@function
fft_rtc_fwd_len1870_factors_17_10_11_wgs_187_tpt_187_halfLds_dp_op_CI_CI_unitstride_sbrr_dirReg: ; @fft_rtc_fwd_len1870_factors_17_10_11_wgs_187_tpt_187_halfLds_dp_op_CI_CI_unitstride_sbrr_dirReg
; %bb.0:
	s_load_dwordx4 s[8:11], s[4:5], 0x58
	s_load_dwordx4 s[12:15], s[4:5], 0x0
	;; [unrolled: 1-line block ×3, first 2 shown]
	v_mul_u32_u24_e32 v1, 0x15f, v0
	v_add_u32_sdwa v6, s6, v1 dst_sel:DWORD dst_unused:UNUSED_PAD src0_sel:DWORD src1_sel:WORD_1
	v_mov_b32_e32 v1, 0
	s_waitcnt lgkmcnt(0)
	v_cmp_lt_u64_e64 s[0:1], s[14:15], 2
	v_mov_b32_e32 v4, 0
	v_mov_b32_e32 v7, v1
	s_and_b64 vcc, exec, s[0:1]
	v_mov_b32_e32 v5, 0
	s_cbranch_vccnz .LBB0_8
; %bb.1:
	s_load_dwordx2 s[0:1], s[4:5], 0x10
	s_add_u32 s2, s18, 8
	s_addc_u32 s3, s19, 0
	s_add_u32 s6, s16, 8
	v_mov_b32_e32 v4, 0
	s_addc_u32 s7, s17, 0
	v_mov_b32_e32 v5, 0
	s_waitcnt lgkmcnt(0)
	s_add_u32 s20, s0, 8
	v_mov_b32_e32 v89, v5
	s_addc_u32 s21, s1, 0
	s_mov_b64 s[22:23], 1
	v_mov_b32_e32 v88, v4
.LBB0_2:                                ; =>This Inner Loop Header: Depth=1
	s_load_dwordx2 s[24:25], s[20:21], 0x0
                                        ; implicit-def: $vgpr92_vgpr93
	s_waitcnt lgkmcnt(0)
	v_or_b32_e32 v2, s25, v7
	v_cmp_ne_u64_e32 vcc, 0, v[1:2]
	s_and_saveexec_b64 s[0:1], vcc
	s_xor_b64 s[26:27], exec, s[0:1]
	s_cbranch_execz .LBB0_4
; %bb.3:                                ;   in Loop: Header=BB0_2 Depth=1
	v_cvt_f32_u32_e32 v2, s24
	v_cvt_f32_u32_e32 v3, s25
	s_sub_u32 s0, 0, s24
	s_subb_u32 s1, 0, s25
	v_mac_f32_e32 v2, 0x4f800000, v3
	v_rcp_f32_e32 v2, v2
	v_mul_f32_e32 v2, 0x5f7ffffc, v2
	v_mul_f32_e32 v3, 0x2f800000, v2
	v_trunc_f32_e32 v3, v3
	v_mac_f32_e32 v2, 0xcf800000, v3
	v_cvt_u32_f32_e32 v3, v3
	v_cvt_u32_f32_e32 v2, v2
	v_mul_lo_u32 v8, s0, v3
	v_mul_hi_u32 v9, s0, v2
	v_mul_lo_u32 v11, s1, v2
	v_mul_lo_u32 v10, s0, v2
	v_add_u32_e32 v8, v9, v8
	v_add_u32_e32 v8, v8, v11
	v_mul_hi_u32 v9, v2, v10
	v_mul_lo_u32 v11, v2, v8
	v_mul_hi_u32 v13, v2, v8
	v_mul_hi_u32 v12, v3, v10
	v_mul_lo_u32 v10, v3, v10
	v_mul_hi_u32 v14, v3, v8
	v_add_co_u32_e32 v9, vcc, v9, v11
	v_addc_co_u32_e32 v11, vcc, 0, v13, vcc
	v_mul_lo_u32 v8, v3, v8
	v_add_co_u32_e32 v9, vcc, v9, v10
	v_addc_co_u32_e32 v9, vcc, v11, v12, vcc
	v_addc_co_u32_e32 v10, vcc, 0, v14, vcc
	v_add_co_u32_e32 v8, vcc, v9, v8
	v_addc_co_u32_e32 v9, vcc, 0, v10, vcc
	v_add_co_u32_e32 v2, vcc, v2, v8
	v_addc_co_u32_e32 v3, vcc, v3, v9, vcc
	v_mul_lo_u32 v8, s0, v3
	v_mul_hi_u32 v9, s0, v2
	v_mul_lo_u32 v10, s1, v2
	v_mul_lo_u32 v11, s0, v2
	v_add_u32_e32 v8, v9, v8
	v_add_u32_e32 v8, v8, v10
	v_mul_lo_u32 v12, v2, v8
	v_mul_hi_u32 v13, v2, v11
	v_mul_hi_u32 v14, v2, v8
	v_mul_hi_u32 v10, v3, v11
	v_mul_lo_u32 v11, v3, v11
	v_mul_hi_u32 v9, v3, v8
	v_add_co_u32_e32 v12, vcc, v13, v12
	v_addc_co_u32_e32 v13, vcc, 0, v14, vcc
	v_mul_lo_u32 v8, v3, v8
	v_add_co_u32_e32 v11, vcc, v12, v11
	v_addc_co_u32_e32 v10, vcc, v13, v10, vcc
	v_addc_co_u32_e32 v9, vcc, 0, v9, vcc
	v_add_co_u32_e32 v8, vcc, v10, v8
	v_addc_co_u32_e32 v9, vcc, 0, v9, vcc
	v_add_co_u32_e32 v8, vcc, v2, v8
	v_addc_co_u32_e32 v9, vcc, v3, v9, vcc
	v_mad_u64_u32 v[2:3], s[0:1], v6, v9, 0
	v_mul_hi_u32 v10, v6, v8
	v_add_co_u32_e32 v10, vcc, v10, v2
	v_addc_co_u32_e32 v11, vcc, 0, v3, vcc
	v_mad_u64_u32 v[2:3], s[0:1], v7, v8, 0
	v_mad_u64_u32 v[8:9], s[0:1], v7, v9, 0
	v_add_co_u32_e32 v2, vcc, v10, v2
	v_addc_co_u32_e32 v2, vcc, v11, v3, vcc
	v_addc_co_u32_e32 v3, vcc, 0, v9, vcc
	v_add_co_u32_e32 v8, vcc, v2, v8
	v_addc_co_u32_e32 v9, vcc, 0, v3, vcc
	v_mul_lo_u32 v10, s25, v8
	v_mul_lo_u32 v11, s24, v9
	v_mad_u64_u32 v[2:3], s[0:1], s24, v8, 0
	v_add3_u32 v3, v3, v11, v10
	v_sub_u32_e32 v10, v7, v3
	v_mov_b32_e32 v11, s25
	v_sub_co_u32_e32 v2, vcc, v6, v2
	v_subb_co_u32_e64 v10, s[0:1], v10, v11, vcc
	v_subrev_co_u32_e64 v11, s[0:1], s24, v2
	v_subbrev_co_u32_e64 v10, s[0:1], 0, v10, s[0:1]
	v_cmp_le_u32_e64 s[0:1], s25, v10
	v_cndmask_b32_e64 v12, 0, -1, s[0:1]
	v_cmp_le_u32_e64 s[0:1], s24, v11
	v_cndmask_b32_e64 v11, 0, -1, s[0:1]
	v_cmp_eq_u32_e64 s[0:1], s25, v10
	v_cndmask_b32_e64 v10, v12, v11, s[0:1]
	v_add_co_u32_e64 v11, s[0:1], 2, v8
	v_addc_co_u32_e64 v12, s[0:1], 0, v9, s[0:1]
	v_add_co_u32_e64 v13, s[0:1], 1, v8
	v_addc_co_u32_e64 v14, s[0:1], 0, v9, s[0:1]
	v_subb_co_u32_e32 v3, vcc, v7, v3, vcc
	v_cmp_ne_u32_e64 s[0:1], 0, v10
	v_cmp_le_u32_e32 vcc, s25, v3
	v_cndmask_b32_e64 v10, v14, v12, s[0:1]
	v_cndmask_b32_e64 v12, 0, -1, vcc
	v_cmp_le_u32_e32 vcc, s24, v2
	v_cndmask_b32_e64 v2, 0, -1, vcc
	v_cmp_eq_u32_e32 vcc, s25, v3
	v_cndmask_b32_e32 v2, v12, v2, vcc
	v_cmp_ne_u32_e32 vcc, 0, v2
	v_cndmask_b32_e64 v2, v13, v11, s[0:1]
	v_cndmask_b32_e32 v93, v9, v10, vcc
	v_cndmask_b32_e32 v92, v8, v2, vcc
.LBB0_4:                                ;   in Loop: Header=BB0_2 Depth=1
	s_andn2_saveexec_b64 s[0:1], s[26:27]
	s_cbranch_execz .LBB0_6
; %bb.5:                                ;   in Loop: Header=BB0_2 Depth=1
	v_cvt_f32_u32_e32 v2, s24
	s_sub_i32 s26, 0, s24
	v_mov_b32_e32 v93, v1
	v_rcp_iflag_f32_e32 v2, v2
	v_mul_f32_e32 v2, 0x4f7ffffe, v2
	v_cvt_u32_f32_e32 v2, v2
	v_mul_lo_u32 v3, s26, v2
	v_mul_hi_u32 v3, v2, v3
	v_add_u32_e32 v2, v2, v3
	v_mul_hi_u32 v2, v6, v2
	v_mul_lo_u32 v3, v2, s24
	v_add_u32_e32 v8, 1, v2
	v_sub_u32_e32 v3, v6, v3
	v_subrev_u32_e32 v9, s24, v3
	v_cmp_le_u32_e32 vcc, s24, v3
	v_cndmask_b32_e32 v3, v3, v9, vcc
	v_cndmask_b32_e32 v2, v2, v8, vcc
	v_add_u32_e32 v8, 1, v2
	v_cmp_le_u32_e32 vcc, s24, v3
	v_cndmask_b32_e32 v92, v2, v8, vcc
.LBB0_6:                                ;   in Loop: Header=BB0_2 Depth=1
	s_or_b64 exec, exec, s[0:1]
	v_mul_lo_u32 v8, v93, s24
	v_mul_lo_u32 v9, v92, s25
	v_mad_u64_u32 v[2:3], s[0:1], v92, s24, 0
	s_load_dwordx2 s[0:1], s[6:7], 0x0
	s_load_dwordx2 s[24:25], s[2:3], 0x0
	v_add3_u32 v3, v3, v9, v8
	v_sub_co_u32_e32 v2, vcc, v6, v2
	v_subb_co_u32_e32 v3, vcc, v7, v3, vcc
	s_waitcnt lgkmcnt(0)
	v_mul_lo_u32 v6, s0, v3
	v_mul_lo_u32 v7, s1, v2
	v_mad_u64_u32 v[4:5], s[0:1], s0, v2, v[4:5]
	v_mul_lo_u32 v3, s24, v3
	v_mul_lo_u32 v8, s25, v2
	v_mad_u64_u32 v[88:89], s[0:1], s24, v2, v[88:89]
	s_add_u32 s22, s22, 1
	s_addc_u32 s23, s23, 0
	s_add_u32 s2, s2, 8
	v_add3_u32 v89, v8, v89, v3
	s_addc_u32 s3, s3, 0
	v_mov_b32_e32 v2, s14
	s_add_u32 s6, s6, 8
	v_mov_b32_e32 v3, s15
	s_addc_u32 s7, s7, 0
	v_cmp_ge_u64_e32 vcc, s[22:23], v[2:3]
	s_add_u32 s20, s20, 8
	v_add3_u32 v5, v7, v5, v6
	s_addc_u32 s21, s21, 0
	s_cbranch_vccnz .LBB0_9
; %bb.7:                                ;   in Loop: Header=BB0_2 Depth=1
	v_mov_b32_e32 v6, v92
	v_mov_b32_e32 v7, v93
	s_branch .LBB0_2
.LBB0_8:
	v_mov_b32_e32 v89, v5
	v_mov_b32_e32 v93, v7
	;; [unrolled: 1-line block ×4, first 2 shown]
.LBB0_9:
	s_load_dwordx2 s[0:1], s[4:5], 0x28
	s_mov_b32 s4, 0x15e75bc
	v_mul_hi_u32 v1, v0, s4
	s_lshl_b64 s[2:3], s[14:15], 3
	s_add_u32 s4, s18, s2
	s_waitcnt lgkmcnt(0)
	v_cmp_gt_u64_e32 vcc, s[0:1], v[92:93]
	v_mul_u32_u24_e32 v1, 0xbb, v1
	v_sub_u32_e32 v90, v0, v1
	s_movk_i32 s0, 0x6e
	v_cmp_gt_u32_e64 s[0:1], s0, v90
	s_addc_u32 s5, s19, s3
	s_and_b64 s[14:15], vcc, s[0:1]
                                        ; implicit-def: $vgpr14_vgpr15
                                        ; implicit-def: $vgpr10_vgpr11
                                        ; implicit-def: $vgpr6_vgpr7
                                        ; implicit-def: $vgpr18_vgpr19
                                        ; implicit-def: $vgpr22_vgpr23
                                        ; implicit-def: $vgpr26_vgpr27
                                        ; implicit-def: $vgpr30_vgpr31
                                        ; implicit-def: $vgpr38_vgpr39
                                        ; implicit-def: $vgpr42_vgpr43
                                        ; implicit-def: $vgpr50_vgpr51
                                        ; implicit-def: $vgpr66_vgpr67
                                        ; implicit-def: $vgpr34_vgpr35
                                        ; implicit-def: $vgpr46_vgpr47
                                        ; implicit-def: $vgpr54_vgpr55
                                        ; implicit-def: $vgpr62_vgpr63
                                        ; implicit-def: $vgpr58_vgpr59
                                        ; implicit-def: $vgpr2_vgpr3
	s_and_saveexec_b64 s[6:7], s[14:15]
	s_cbranch_execz .LBB0_11
; %bb.10:
	s_add_u32 s2, s16, s2
	s_addc_u32 s3, s17, s3
	s_load_dwordx2 s[2:3], s[2:3], 0x0
	v_mov_b32_e32 v6, s9
	v_mov_b32_e32 v91, 0
	s_waitcnt lgkmcnt(0)
	v_mul_lo_u32 v2, s3, v92
	v_mul_lo_u32 v3, s2, v93
	v_mad_u64_u32 v[0:1], s[2:3], s2, v92, 0
	v_add3_u32 v1, v1, v3, v2
	v_lshlrev_b64 v[0:1], 4, v[0:1]
	v_add_co_u32_e64 v2, s[2:3], s8, v0
	v_addc_co_u32_e64 v3, s[2:3], v6, v1, s[2:3]
	v_lshlrev_b64 v[0:1], 4, v[4:5]
	v_add_co_u32_e64 v2, s[2:3], v2, v0
	v_addc_co_u32_e64 v3, s[2:3], v3, v1, s[2:3]
	;; [unrolled: 3-line block ×3, first 2 shown]
	s_movk_i32 s2, 0x1000
	v_add_co_u32_e64 v6, s[2:3], s2, v4
	v_addc_co_u32_e64 v7, s[2:3], 0, v5, s[2:3]
	s_movk_i32 s2, 0x2000
	v_add_co_u32_e64 v68, s[2:3], s2, v4
	v_addc_co_u32_e64 v69, s[2:3], 0, v5, s[2:3]
	;; [unrolled: 3-line block ×5, first 2 shown]
	s_movk_i32 s2, 0x6000
	v_add_co_u32_e64 v76, s[2:3], s2, v4
	global_load_dwordx4 v[0:3], v[4:5], off
	global_load_dwordx4 v[56:59], v[4:5], off offset:1760
	global_load_dwordx4 v[60:63], v[4:5], off offset:3520
	;; [unrolled: 1-line block ×5, first 2 shown]
	v_addc_co_u32_e64 v77, s[2:3], 0, v5, s[2:3]
	global_load_dwordx4 v[64:67], v[68:69], off offset:2368
	global_load_dwordx4 v[48:51], v[70:71], off offset:32
	;; [unrolled: 1-line block ×11, first 2 shown]
.LBB0_11:
	s_or_b64 exec, exec, s[6:7]
	s_waitcnt vmcnt(0)
	v_add_f64 v[68:69], v[12:13], v[56:57]
	s_mov_b32 s2, 0x910ea3b9
	s_mov_b32 s3, 0xbfeb34fa
	v_add_f64 v[72:73], v[58:59], -v[14:15]
	v_add_f64 v[70:71], v[8:9], v[60:61]
	s_mov_b32 s20, 0x4363dd80
	s_mov_b32 s6, 0x2b2883cd
	;; [unrolled: 1-line block ×3, first 2 shown]
	v_mul_f64 v[118:119], v[68:69], s[2:3]
	s_mov_b32 s7, 0x3fdc86fa
	v_add_f64 v[74:75], v[62:63], -v[10:11]
	v_add_f64 v[76:77], v[4:5], v[52:53]
	v_mul_f64 v[120:121], v[70:71], s[6:7]
	s_mov_b32 s24, 0x7c9e640b
	s_mov_b32 s8, 0x3259b75e
	;; [unrolled: 1-line block ×3, first 2 shown]
	v_fma_f64 v[82:83], v[72:73], s[20:21], v[118:119]
	s_mov_b32 s9, 0x3fb79ee6
	v_add_f64 v[80:81], v[54:55], -v[6:7]
	v_add_f64 v[78:79], v[16:17], v[44:45]
	v_mul_f64 v[108:109], v[76:77], s[8:9]
	v_fma_f64 v[86:87], v[74:75], s[24:25], v[120:121]
	s_mov_b32 s26, 0xeb564b22
	s_mov_b32 s14, 0x6ed5f1bb
	v_add_f64 v[94:95], v[0:1], v[82:83]
	s_mov_b32 s27, 0xbfefdd0d
	s_mov_b32 s15, 0xbfe348c8
	v_add_f64 v[84:85], v[46:47], -v[18:19]
	v_add_f64 v[82:83], v[20:21], v[32:33]
	v_mul_f64 v[110:111], v[78:79], s[14:15]
	v_fma_f64 v[96:97], v[80:81], s[26:27], v[108:109]
	s_mov_b32 s30, 0x6c9a05f6
	v_add_f64 v[94:95], v[86:87], v[94:95]
	s_mov_b32 s16, 0x370991
	s_mov_b32 s31, 0x3fe9895b
	;; [unrolled: 1-line block ×3, first 2 shown]
	v_add_f64 v[86:87], v[24:25], v[64:65]
	v_add_f64 v[100:101], v[34:35], -v[22:23]
	v_mul_f64 v[114:115], v[82:83], s[16:17]
	v_fma_f64 v[102:103], v[84:85], s[30:31], v[110:111]
	v_add_f64 v[94:95], v[96:97], v[94:95]
	s_mov_b32 s18, 0x7faef3
	s_mov_b32 s34, 0x5d8e7cdc
	;; [unrolled: 1-line block ×4, first 2 shown]
	v_add_f64 v[98:99], v[66:67], -v[26:27]
	v_mul_f64 v[116:117], v[86:87], s[18:19]
	v_add_f64 v[96:97], v[28:29], v[48:49]
	v_add_f64 v[94:95], v[102:103], v[94:95]
	v_fma_f64 v[102:103], v[100:101], s[34:35], v[114:115]
	s_mov_b32 s36, 0xacd6c6b4
	s_mov_b32 s22, 0x75d4884
	;; [unrolled: 1-line block ×4, first 2 shown]
	v_fma_f64 v[106:107], v[98:99], s[36:37], v[116:117]
	v_add_f64 v[104:105], v[50:51], -v[30:31]
	v_mul_f64 v[112:113], v[96:97], s[22:23]
	v_add_f64 v[94:95], v[102:103], v[94:95]
	v_add_f64 v[102:103], v[36:37], v[40:41]
	s_mov_b32 s38, 0x2a9d6da3
	s_mov_b32 s28, 0xc61f0d01
	;; [unrolled: 1-line block ×5, first 2 shown]
	v_fma_f64 v[124:125], v[104:105], s[38:39], v[112:113]
	v_add_f64 v[94:95], v[106:107], v[94:95]
	v_add_f64 v[106:107], v[42:43], -v[38:39]
	v_mul_f64 v[122:123], v[102:103], s[28:29]
	s_mov_b32 s41, 0xbfeec746
	v_add_f64 v[94:95], v[124:125], v[94:95]
	v_fma_f64 v[124:125], v[106:107], s[40:41], v[122:123]
	v_add_f64 v[94:95], v[124:125], v[94:95]
	s_and_saveexec_b64 s[42:43], s[0:1]
	s_cbranch_execz .LBB0_13
; %bb.12:
	v_mul_f64 v[124:125], v[72:73], s[36:37]
	s_mov_b32 s45, 0x3fd71e95
	s_mov_b32 s44, s34
	v_mul_f64 v[132:133], v[72:73], s[20:21]
	v_mul_f64 v[134:135], v[74:75], s[44:45]
	v_mul_f64 v[140:141], v[74:75], s[24:25]
	v_mul_f64 v[142:143], v[80:81], s[20:21]
	v_mul_f64 v[138:139], v[80:81], s[26:27]
	v_fma_f64 v[136:137], v[68:69], s[18:19], v[124:125]
	v_fma_f64 v[124:125], v[68:69], s[18:19], -v[124:125]
	v_mul_f64 v[146:147], v[84:85], s[38:39]
	v_add_f64 v[118:119], v[118:119], -v[132:133]
	v_fma_f64 v[132:133], v[70:71], s[16:17], v[134:135]
	v_add_f64 v[120:121], v[120:121], -v[140:141]
	v_fma_f64 v[140:141], v[76:77], s[2:3], v[142:143]
	v_fma_f64 v[134:135], v[70:71], s[16:17], -v[134:135]
	v_add_f64 v[136:137], v[0:1], v[136:137]
	v_add_f64 v[124:125], v[0:1], v[124:125]
	v_mul_f64 v[126:127], v[106:107], s[40:41]
	v_add_f64 v[118:119], v[0:1], v[118:119]
	v_mul_f64 v[130:131], v[84:85], s[30:31]
	v_add_f64 v[108:109], v[108:109], -v[138:139]
	v_fma_f64 v[138:139], v[76:77], s[2:3], -v[142:143]
	v_fma_f64 v[142:143], v[78:79], s[22:23], v[146:147]
	v_add_f64 v[132:133], v[132:133], v[136:137]
	v_add_f64 v[124:125], v[134:135], v[124:125]
	s_mov_b32 s47, 0xbfe9895b
	v_add_f64 v[118:119], v[120:121], v[118:119]
	s_mov_b32 s46, s30
	v_mul_f64 v[128:129], v[98:99], s[36:37]
	v_mul_f64 v[136:137], v[72:73], s[46:47]
	v_add_f64 v[122:123], v[122:123], -v[126:127]
	v_add_f64 v[120:121], v[140:141], v[132:133]
	v_add_f64 v[110:111], v[110:111], -v[130:131]
	v_fma_f64 v[126:127], v[78:79], s[22:23], -v[146:147]
	v_add_f64 v[124:125], v[138:139], v[124:125]
	v_add_f64 v[108:109], v[108:109], v[118:119]
	s_mov_b32 s49, 0x3feec746
	s_mov_b32 s48, s40
	v_mul_f64 v[144:145], v[100:101], s[34:35]
	v_add_f64 v[118:119], v[142:143], v[120:121]
	v_mul_f64 v[120:121], v[100:101], s[46:47]
	v_add_f64 v[116:117], v[116:117], -v[128:129]
	v_fma_f64 v[128:129], v[68:69], s[14:15], v[136:137]
	v_mul_f64 v[130:131], v[74:75], s[48:49]
	v_add_f64 v[124:125], v[126:127], v[124:125]
	v_fma_f64 v[126:127], v[68:69], s[14:15], -v[136:137]
	v_add_f64 v[108:109], v[110:111], v[108:109]
	v_add_f64 v[114:115], v[114:115], -v[144:145]
	v_fma_f64 v[110:111], v[82:83], s[14:15], v[120:121]
	v_fma_f64 v[120:121], v[82:83], s[14:15], -v[120:121]
	v_mul_f64 v[132:133], v[104:105], s[38:39]
	v_add_f64 v[128:129], v[0:1], v[128:129]
	v_fma_f64 v[134:135], v[70:71], s[28:29], v[130:131]
	v_fma_f64 v[130:131], v[70:71], s[28:29], -v[130:131]
	v_add_f64 v[126:127], v[0:1], v[126:127]
	v_mul_f64 v[136:137], v[80:81], s[34:35]
	v_add_f64 v[110:111], v[110:111], v[118:119]
	v_add_f64 v[118:119], v[120:121], v[124:125]
	v_mul_f64 v[120:121], v[98:99], s[24:25]
	v_add_f64 v[108:109], v[114:115], v[108:109]
	v_add_f64 v[112:113], v[112:113], -v[132:133]
	v_add_f64 v[114:115], v[134:135], v[128:129]
	v_add_f64 v[124:125], v[130:131], v[126:127]
	v_fma_f64 v[126:127], v[76:77], s[16:17], v[136:137]
	v_fma_f64 v[128:129], v[76:77], s[16:17], -v[136:137]
	v_mul_f64 v[130:131], v[84:85], s[20:21]
	v_fma_f64 v[132:133], v[86:87], s[6:7], v[120:121]
	v_fma_f64 v[120:121], v[86:87], s[6:7], -v[120:121]
	v_mul_f64 v[134:135], v[104:105], s[40:41]
	s_mov_b32 s57, 0x3fefdd0d
	s_mov_b32 s56, s26
	v_add_f64 v[114:115], v[126:127], v[114:115]
	v_add_f64 v[124:125], v[128:129], v[124:125]
	v_fma_f64 v[126:127], v[78:79], s[2:3], v[130:131]
	v_fma_f64 v[128:129], v[78:79], s[2:3], -v[130:131]
	v_mul_f64 v[130:131], v[100:101], s[56:57]
	v_add_f64 v[110:111], v[132:133], v[110:111]
	v_add_f64 v[118:119], v[120:121], v[118:119]
	v_fma_f64 v[120:121], v[96:97], s[28:29], v[134:135]
	v_fma_f64 v[132:133], v[96:97], s[28:29], -v[134:135]
	v_mul_f64 v[134:135], v[106:107], s[56:57]
	s_mov_b32 s51, 0xbfe58eea
	s_mov_b32 s50, s38
	v_add_f64 v[114:115], v[126:127], v[114:115]
	v_add_f64 v[124:125], v[128:129], v[124:125]
	v_fma_f64 v[126:127], v[82:83], s[8:9], v[130:131]
	v_fma_f64 v[128:129], v[82:83], s[8:9], -v[130:131]
	v_mul_f64 v[130:131], v[98:99], s[50:51]
	v_add_f64 v[108:109], v[116:117], v[108:109]
	v_add_f64 v[110:111], v[120:121], v[110:111]
	v_mul_f64 v[116:117], v[72:73], s[40:41]
	v_fma_f64 v[120:121], v[102:103], s[8:9], v[134:135]
	s_mov_b32 s53, 0x3fe0d888
	s_mov_b32 s52, s20
	v_add_f64 v[118:119], v[132:133], v[118:119]
	v_add_f64 v[114:115], v[126:127], v[114:115]
	;; [unrolled: 1-line block ×3, first 2 shown]
	v_fma_f64 v[126:127], v[86:87], s[22:23], v[130:131]
	v_fma_f64 v[128:129], v[68:69], s[28:29], v[116:117]
	v_mul_f64 v[132:133], v[74:75], s[52:53]
	v_add_f64 v[112:113], v[112:113], v[108:109]
	v_add_f64 v[108:109], v[120:121], v[110:111]
	v_fma_f64 v[110:111], v[102:103], s[8:9], -v[134:135]
	v_mul_f64 v[120:121], v[104:105], s[36:37]
	v_fma_f64 v[130:131], v[86:87], s[22:23], -v[130:131]
	v_add_f64 v[114:115], v[126:127], v[114:115]
	v_add_f64 v[126:127], v[0:1], v[128:129]
	v_fma_f64 v[128:129], v[70:71], s[2:3], v[132:133]
	v_fma_f64 v[116:117], v[68:69], s[28:29], -v[116:117]
	s_mov_b32 s55, 0xbfeca52d
	v_add_f64 v[110:111], v[110:111], v[118:119]
	v_fma_f64 v[118:119], v[96:97], s[18:19], v[120:121]
	v_add_f64 v[124:125], v[130:131], v[124:125]
	v_mul_f64 v[130:131], v[80:81], s[38:39]
	s_mov_b32 s54, s24
	v_add_f64 v[126:127], v[128:129], v[126:127]
	v_fma_f64 v[128:129], v[70:71], s[2:3], -v[132:133]
	v_add_f64 v[116:117], v[0:1], v[116:117]
	v_add_f64 v[112:113], v[122:123], v[112:113]
	;; [unrolled: 1-line block ×3, first 2 shown]
	v_fma_f64 v[118:119], v[96:97], s[18:19], -v[120:121]
	v_mul_f64 v[120:121], v[72:73], s[26:27]
	v_mul_f64 v[122:123], v[106:107], s[24:25]
	v_fma_f64 v[132:133], v[76:77], s[22:23], v[130:131]
	v_mul_f64 v[134:135], v[84:85], s[54:55]
	v_add_f64 v[116:117], v[128:129], v[116:117]
	v_fma_f64 v[128:129], v[76:77], s[22:23], -v[130:131]
	v_mul_f64 v[138:139], v[74:75], s[36:37]
	v_add_f64 v[118:119], v[118:119], v[124:125]
	v_fma_f64 v[124:125], v[68:69], s[8:9], v[120:121]
	v_fma_f64 v[130:131], v[102:103], s[6:7], v[122:123]
	v_add_f64 v[126:127], v[132:133], v[126:127]
	v_fma_f64 v[132:133], v[78:79], s[6:7], v[134:135]
	v_mul_f64 v[136:137], v[100:101], s[36:37]
	v_add_f64 v[116:117], v[128:129], v[116:117]
	v_fma_f64 v[128:129], v[78:79], s[6:7], -v[134:135]
	v_fma_f64 v[134:135], v[70:71], s[18:19], v[138:139]
	v_add_f64 v[124:125], v[0:1], v[124:125]
	v_mul_f64 v[140:141], v[80:81], s[48:49]
	v_add_f64 v[114:115], v[130:131], v[114:115]
	v_add_f64 v[126:127], v[132:133], v[126:127]
	v_fma_f64 v[130:131], v[82:83], s[18:19], v[136:137]
	v_mul_f64 v[132:133], v[98:99], s[56:57]
	v_add_f64 v[116:117], v[128:129], v[116:117]
	v_fma_f64 v[128:129], v[82:83], s[18:19], -v[136:137]
	v_add_f64 v[124:125], v[134:135], v[124:125]
	v_fma_f64 v[134:135], v[76:77], s[28:29], v[140:141]
	v_mul_f64 v[142:143], v[84:85], s[44:45]
	v_fma_f64 v[122:123], v[102:103], s[6:7], -v[122:123]
	v_add_f64 v[126:127], v[130:131], v[126:127]
	v_fma_f64 v[130:131], v[86:87], s[8:9], v[132:133]
	v_mul_f64 v[136:137], v[104:105], s[34:35]
	v_add_f64 v[116:117], v[128:129], v[116:117]
	v_fma_f64 v[128:129], v[86:87], s[8:9], -v[132:133]
	v_add_f64 v[124:125], v[134:135], v[124:125]
	v_fma_f64 v[132:133], v[78:79], s[16:17], v[142:143]
	v_mul_f64 v[134:135], v[100:101], s[54:55]
	v_fma_f64 v[120:121], v[68:69], s[8:9], -v[120:121]
	v_add_f64 v[118:119], v[122:123], v[118:119]
	v_add_f64 v[122:123], v[130:131], v[126:127]
	v_fma_f64 v[126:127], v[96:97], s[16:17], v[136:137]
	v_mul_f64 v[130:131], v[106:107], s[46:47]
	v_fma_f64 v[138:139], v[70:71], s[18:19], -v[138:139]
	v_add_f64 v[124:125], v[132:133], v[124:125]
	v_fma_f64 v[132:133], v[82:83], s[6:7], v[134:135]
	v_add_f64 v[120:121], v[0:1], v[120:121]
	v_add_f64 v[116:117], v[128:129], v[116:117]
	v_fma_f64 v[128:129], v[96:97], s[16:17], -v[136:137]
	v_add_f64 v[122:123], v[126:127], v[122:123]
	v_fma_f64 v[126:127], v[102:103], s[14:15], v[130:131]
	v_mul_f64 v[136:137], v[72:73], s[54:55]
	v_mul_f64 v[144:145], v[74:75], s[46:47]
	v_add_f64 v[124:125], v[132:133], v[124:125]
	v_add_f64 v[120:121], v[138:139], v[120:121]
	v_fma_f64 v[132:133], v[76:77], s[28:29], -v[140:141]
	v_add_f64 v[116:117], v[128:129], v[116:117]
	v_mul_f64 v[128:129], v[98:99], s[20:21]
	v_add_f64 v[122:123], v[126:127], v[122:123]
	v_fma_f64 v[126:127], v[68:69], s[6:7], v[136:137]
	v_fma_f64 v[136:137], v[68:69], s[6:7], -v[136:137]
	s_mov_b32 s57, 0x3fc7851a
	s_mov_b32 s56, s36
	v_add_f64 v[120:121], v[132:133], v[120:121]
	v_fma_f64 v[132:133], v[78:79], s[16:17], -v[142:143]
	v_fma_f64 v[138:139], v[86:87], s[2:3], v[128:129]
	v_mul_f64 v[140:141], v[104:105], s[30:31]
	v_add_f64 v[126:127], v[0:1], v[126:127]
	v_fma_f64 v[146:147], v[70:71], s[14:15], v[144:145]
	v_mul_f64 v[148:149], v[80:81], s[56:57]
	v_add_f64 v[136:137], v[0:1], v[136:137]
	v_fma_f64 v[130:131], v[102:103], s[14:15], -v[130:131]
	v_add_f64 v[120:121], v[132:133], v[120:121]
	v_fma_f64 v[132:133], v[82:83], s[6:7], -v[134:135]
	v_fma_f64 v[134:135], v[70:71], s[14:15], -v[144:145]
	v_add_f64 v[124:125], v[138:139], v[124:125]
	v_fma_f64 v[138:139], v[96:97], s[14:15], v[140:141]
	v_add_f64 v[126:127], v[146:147], v[126:127]
	v_fma_f64 v[146:147], v[76:77], s[18:19], v[148:149]
	v_mul_f64 v[150:151], v[84:85], s[48:49]
	v_mul_f64 v[142:143], v[106:107], s[38:39]
	v_add_f64 v[120:121], v[132:133], v[120:121]
	v_add_f64 v[132:133], v[134:135], v[136:137]
	v_fma_f64 v[134:135], v[76:77], s[18:19], -v[148:149]
	v_add_f64 v[136:137], v[56:57], v[0:1]
	v_add_f64 v[116:117], v[130:131], v[116:117]
	;; [unrolled: 1-line block ×4, first 2 shown]
	v_fma_f64 v[130:131], v[78:79], s[28:29], v[150:151]
	v_mul_f64 v[138:139], v[100:101], s[38:39]
	v_fma_f64 v[144:145], v[102:103], s[22:23], v[142:143]
	v_add_f64 v[132:133], v[134:135], v[132:133]
	v_add_f64 v[134:135], v[60:61], v[136:137]
	v_fma_f64 v[128:129], v[86:87], s[2:3], -v[128:129]
	v_mul_f64 v[146:147], v[72:73], s[50:51]
	v_fma_f64 v[136:137], v[78:79], s[28:29], -v[150:151]
	v_add_f64 v[126:127], v[130:131], v[126:127]
	v_fma_f64 v[130:131], v[82:83], s[22:23], v[138:139]
	v_add_f64 v[124:125], v[144:145], v[124:125]
	v_mul_f64 v[144:145], v[98:99], s[34:35]
	v_add_f64 v[134:135], v[52:53], v[134:135]
	v_add_f64 v[120:121], v[128:129], v[120:121]
	v_fma_f64 v[128:129], v[68:69], s[22:23], v[146:147]
	v_add_f64 v[132:133], v[136:137], v[132:133]
	v_fma_f64 v[136:137], v[82:83], s[22:23], -v[138:139]
	v_add_f64 v[126:127], v[130:131], v[126:127]
	v_mul_f64 v[130:131], v[74:75], s[26:27]
	v_fma_f64 v[148:149], v[86:87], s[16:17], v[144:145]
	v_add_f64 v[134:135], v[44:45], v[134:135]
	v_mul_f64 v[150:151], v[104:105], s[26:27]
	v_fma_f64 v[138:139], v[96:97], s[14:15], -v[140:141]
	v_add_f64 v[128:129], v[0:1], v[128:129]
	v_mul_f64 v[152:153], v[80:81], s[46:47]
	v_add_f64 v[132:133], v[136:137], v[132:133]
	v_fma_f64 v[140:141], v[70:71], s[8:9], v[130:131]
	v_fma_f64 v[136:137], v[68:69], s[22:23], -v[146:147]
	v_add_f64 v[134:135], v[32:33], v[134:135]
	v_add_f64 v[126:127], v[148:149], v[126:127]
	v_fma_f64 v[148:149], v[96:97], s[8:9], v[150:151]
	v_add_f64 v[120:121], v[138:139], v[120:121]
	v_mul_f64 v[138:139], v[84:85], s[36:37]
	v_fma_f64 v[130:131], v[70:71], s[8:9], -v[130:131]
	v_add_f64 v[128:129], v[140:141], v[128:129]
	v_fma_f64 v[140:141], v[76:77], s[14:15], v[152:153]
	v_add_f64 v[136:137], v[0:1], v[136:137]
	v_mul_f64 v[72:73], v[72:73], s[34:35]
	v_add_f64 v[134:135], v[64:65], v[134:135]
	v_add_f64 v[126:127], v[148:149], v[126:127]
	v_mul_f64 v[74:75], v[74:75], s[50:51]
	v_mul_f64 v[80:81], v[80:81], s[54:55]
	;; [unrolled: 1-line block ×3, first 2 shown]
	v_add_f64 v[128:129], v[140:141], v[128:129]
	v_fma_f64 v[140:141], v[78:79], s[18:19], v[138:139]
	v_add_f64 v[130:131], v[130:131], v[136:137]
	v_fma_f64 v[136:137], v[76:77], s[14:15], -v[152:153]
	v_fma_f64 v[148:149], v[68:69], s[16:17], -v[72:73]
	v_add_f64 v[134:135], v[48:49], v[134:135]
	v_fma_f64 v[68:69], v[68:69], s[16:17], v[72:73]
	v_fma_f64 v[144:145], v[86:87], s[16:17], -v[144:145]
	v_fma_f64 v[138:139], v[78:79], s[18:19], -v[138:139]
	v_add_f64 v[128:129], v[140:141], v[128:129]
	v_fma_f64 v[146:147], v[96:97], s[8:9], -v[150:151]
	v_add_f64 v[130:131], v[136:137], v[130:131]
	;; [unrolled: 2-line block ×3, first 2 shown]
	v_add_f64 v[134:135], v[40:41], v[134:135]
	v_add_f64 v[0:1], v[0:1], v[68:69]
	v_fma_f64 v[68:69], v[70:71], s[22:23], v[74:75]
	v_fma_f64 v[74:75], v[76:77], s[6:7], -v[80:81]
	v_add_f64 v[132:133], v[144:145], v[132:133]
	v_mul_f64 v[144:145], v[100:101], s[52:53]
	v_mul_f64 v[100:101], v[100:101], s[40:41]
	v_add_f64 v[136:137], v[136:137], v[140:141]
	v_add_f64 v[134:135], v[36:37], v[134:135]
	v_mul_f64 v[70:71], v[98:99], s[48:49]
	v_add_f64 v[0:1], v[68:69], v[0:1]
	v_fma_f64 v[68:69], v[76:77], s[6:7], v[80:81]
	v_fma_f64 v[76:77], v[78:79], s[8:9], -v[84:85]
	v_fma_f64 v[78:79], v[78:79], s[8:9], v[84:85]
	v_mul_f64 v[84:85], v[98:99], s[46:47]
	v_add_f64 v[74:75], v[74:75], v[136:137]
	v_add_f64 v[80:81], v[28:29], v[134:135]
	v_fma_f64 v[72:73], v[82:83], s[2:3], v[144:145]
	v_add_f64 v[130:131], v[138:139], v[130:131]
	v_add_f64 v[0:1], v[68:69], v[0:1]
	v_fma_f64 v[138:139], v[82:83], s[2:3], -v[144:145]
	v_mul_f64 v[68:69], v[104:105], s[24:25]
	s_movk_i32 s33, 0x88
	v_add_f64 v[74:75], v[76:77], v[74:75]
	v_add_f64 v[76:77], v[24:25], v[80:81]
	v_fma_f64 v[80:81], v[82:83], s[28:29], -v[100:101]
	v_add_f64 v[72:73], v[72:73], v[128:129]
	v_add_f64 v[0:1], v[78:79], v[0:1]
	v_fma_f64 v[78:79], v[82:83], s[28:29], v[100:101]
	v_mul_f64 v[82:83], v[104:105], s[20:21]
	v_add_f64 v[128:129], v[138:139], v[130:131]
	v_fma_f64 v[130:131], v[86:87], s[28:29], -v[70:71]
	v_add_f64 v[76:77], v[20:21], v[76:77]
	v_add_f64 v[74:75], v[80:81], v[74:75]
	v_fma_f64 v[80:81], v[86:87], s[14:15], -v[84:85]
	v_fma_f64 v[70:71], v[86:87], s[28:29], v[70:71]
	v_fma_f64 v[84:85], v[86:87], s[14:15], v[84:85]
	v_add_f64 v[0:1], v[78:79], v[0:1]
	v_fma_f64 v[78:79], v[96:97], s[2:3], -v[82:83]
	v_mul_f64 v[86:87], v[106:107], s[36:37]
	v_add_f64 v[76:77], v[16:17], v[76:77]
	v_add_f64 v[98:99], v[130:131], v[128:129]
	;; [unrolled: 1-line block ×3, first 2 shown]
	v_fma_f64 v[128:129], v[96:97], s[6:7], -v[68:69]
	v_add_f64 v[70:71], v[70:71], v[72:73]
	v_fma_f64 v[68:69], v[96:97], s[6:7], v[68:69]
	v_mul_f64 v[80:81], v[106:107], s[20:21]
	v_fma_f64 v[82:83], v[96:97], s[2:3], v[82:83]
	v_add_f64 v[76:77], v[4:5], v[76:77]
	v_mul_f64 v[96:97], v[106:107], s[44:45]
	v_add_f64 v[0:1], v[84:85], v[0:1]
	v_add_f64 v[74:75], v[78:79], v[74:75]
	v_fma_f64 v[84:85], v[102:103], s[18:19], -v[86:87]
	v_add_f64 v[100:101], v[146:147], v[132:133]
	v_add_f64 v[72:73], v[128:129], v[98:99]
	;; [unrolled: 1-line block ×4, first 2 shown]
	v_fma_f64 v[70:71], v[102:103], s[2:3], -v[80:81]
	v_fma_f64 v[98:99], v[102:103], s[16:17], -v[96:97]
	v_fma_f64 v[78:79], v[102:103], s[22:23], -v[142:143]
	v_fma_f64 v[80:81], v[102:103], s[2:3], v[80:81]
	v_fma_f64 v[96:97], v[102:103], s[16:17], v[96:97]
	;; [unrolled: 1-line block ×3, first 2 shown]
	v_add_f64 v[0:1], v[82:83], v[0:1]
	v_add_f64 v[74:75], v[84:85], v[74:75]
	;; [unrolled: 1-line block ×8, first 2 shown]
	v_mad_u32_u24 v82, v90, s33, 0
	v_add_f64 v[0:1], v[86:87], v[0:1]
	ds_write2_b64 v82, v[76:77], v[74:75] offset1:1
	ds_write2_b64 v82, v[72:73], v[70:71] offset0:2 offset1:3
	ds_write2_b64 v82, v[78:79], v[116:117] offset0:4 offset1:5
	;; [unrolled: 1-line block ×7, first 2 shown]
	ds_write_b64 v82, v[0:1] offset:128
.LBB0_13:
	s_or_b64 exec, exec, s[42:43]
	v_add_f64 v[118:119], v[56:57], -v[12:13]
	v_add_f64 v[112:113], v[14:15], v[58:59]
	v_add_f64 v[110:111], v[60:61], -v[8:9]
	v_add_f64 v[108:109], v[10:11], v[62:63]
	;; [unrolled: 2-line block ×4, first 2 shown]
	v_mul_f64 v[114:115], v[118:119], s[20:21]
	v_add_f64 v[56:57], v[32:33], -v[20:21]
	v_mul_f64 v[116:117], v[110:111], s[24:25]
	v_add_f64 v[52:53], v[22:23], v[34:35]
	v_mul_f64 v[104:105], v[106:107], s[26:27]
	v_add_f64 v[44:45], v[64:65], -v[24:25]
	v_mul_f64 v[98:99], v[100:101], s[30:31]
	v_add_f64 v[32:33], v[26:27], v[66:67]
	v_fma_f64 v[0:1], v[112:113], s[2:3], -v[114:115]
	v_mul_f64 v[60:61], v[56:57], s[34:35]
	v_fma_f64 v[4:5], v[108:109], s[6:7], -v[116:117]
	v_add_f64 v[20:21], v[48:49], -v[28:29]
	v_fma_f64 v[8:9], v[102:103], s[8:9], -v[104:105]
	v_mul_f64 v[48:49], v[44:45], s[36:37]
	v_add_f64 v[16:17], v[30:31], v[50:51]
	v_lshl_add_u32 v91, v90, 3, 0
	v_add_f64 v[0:1], v[2:3], v[0:1]
	v_fma_f64 v[12:13], v[52:53], s[16:17], -v[60:61]
	v_add_u32_e32 v64, 0xa00, v91
	v_mul_f64 v[24:25], v[20:21], s[38:39]
	v_add_u32_e32 v120, 0x2200, v91
	v_fma_f64 v[28:29], v[32:33], s[18:19], -v[48:49]
	v_add_u32_e32 v121, 0x2e00, v91
	s_waitcnt lgkmcnt(0)
	v_add_f64 v[0:1], v[4:5], v[0:1]
	v_fma_f64 v[4:5], v[96:97], s[14:15], -v[98:99]
	s_barrier
	ds_read2_b64 v[68:71], v91 offset1:187
	v_add_u32_e32 v65, 0x1600, v91
	ds_read2_b64 v[84:87], v64 offset0:54 offset1:241
	ds_read2_b64 v[80:83], v65 offset0:44 offset1:231
	;; [unrolled: 1-line block ×3, first 2 shown]
	v_add_f64 v[0:1], v[8:9], v[0:1]
	v_add_f64 v[8:9], v[40:41], -v[36:37]
	v_fma_f64 v[36:37], v[16:17], s[22:23], -v[24:25]
	ds_read2_b64 v[72:75], v121 offset0:24 offset1:211
	s_waitcnt lgkmcnt(0)
	s_barrier
	v_add_f64 v[0:1], v[4:5], v[0:1]
	v_mul_f64 v[4:5], v[8:9], s[40:41]
	v_add_f64 v[12:13], v[12:13], v[0:1]
	v_add_f64 v[0:1], v[38:39], v[42:43]
	;; [unrolled: 1-line block ×3, first 2 shown]
	v_fma_f64 v[28:29], v[0:1], s[28:29], -v[4:5]
	v_add_f64 v[12:13], v[36:37], v[12:13]
	v_add_f64 v[40:41], v[28:29], v[12:13]
	s_and_saveexec_b64 s[20:21], s[0:1]
	s_cbranch_execz .LBB0_15
; %bb.14:
	v_add_f64 v[12:13], v[58:59], v[2:3]
	s_mov_b32 s36, 0xeb564b22
	s_mov_b32 s37, 0xbfefdd0d
	v_mul_f64 v[122:123], v[108:109], s[6:7]
	v_mul_f64 v[28:29], v[16:17], s[22:23]
	s_mov_b32 s22, 0x5d8e7cdc
	s_mov_b32 s38, 0x2a9d6da3
	;; [unrolled: 1-line block ×3, first 2 shown]
	v_add_f64 v[62:63], v[62:63], v[12:13]
	s_mov_b32 s30, 0xacd6c6b4
	s_mov_b32 s23, 0xbfd71e95
	;; [unrolled: 1-line block ×5, first 2 shown]
	v_mul_f64 v[58:59], v[112:113], s[2:3]
	v_mul_f64 v[136:137], v[110:111], s[30:31]
	v_add_f64 v[54:55], v[54:55], v[62:63]
	v_mul_f64 v[62:63], v[118:119], s[36:37]
	v_mul_f64 v[124:125], v[102:103], s[8:9]
	;; [unrolled: 1-line block ×4, first 2 shown]
	s_mov_b32 s8, 0x370991
	s_mov_b32 s0, 0x75d4884
	;; [unrolled: 1-line block ×3, first 2 shown]
	v_add_f64 v[46:47], v[46:47], v[54:55]
	s_mov_b32 s18, 0x6c9a05f6
	s_mov_b32 s28, 0x7faef3
	v_mul_f64 v[126:127], v[96:97], s[14:15]
	s_mov_b32 s9, 0x3fedd6d0
	s_mov_b32 s1, 0x3fe7a5f6
	;; [unrolled: 1-line block ×4, first 2 shown]
	v_add_f64 v[34:35], v[34:35], v[46:47]
	v_mul_f64 v[46:47], v[118:119], s[22:23]
	s_mov_b32 s27, 0xbfeec746
	s_mov_b32 s19, 0xbfe9895b
	;; [unrolled: 1-line block ×3, first 2 shown]
	v_mul_f64 v[54:55], v[118:119], s[14:15]
	v_mul_f64 v[130:131], v[118:119], s[18:19]
	;; [unrolled: 1-line block ×3, first 2 shown]
	v_add_f64 v[34:35], v[66:67], v[34:35]
	v_mul_f64 v[66:67], v[118:119], s[26:27]
	v_add_f64 v[58:59], v[58:59], v[114:115]
	v_fma_f64 v[114:115], v[112:113], s[8:9], v[46:47]
	v_fma_f64 v[46:47], v[112:113], s[8:9], -v[46:47]
	v_mul_f64 v[128:129], v[52:53], s[16:17]
	s_mov_b32 s2, 0x2b2883cd
	s_mov_b32 s24, 0xc61f0d01
	v_add_f64 v[34:35], v[50:51], v[34:35]
	v_mul_f64 v[50:51], v[118:119], s[38:39]
	v_mul_f64 v[118:119], v[118:119], s[30:31]
	s_mov_b32 s16, 0x6ed5f1bb
	s_mov_b32 s48, 0x4363dd80
	;; [unrolled: 1-line block ×5, first 2 shown]
	v_add_f64 v[34:35], v[42:43], v[34:35]
	v_mul_f64 v[42:43], v[110:111], s[36:37]
	s_mov_b32 s49, 0x3fe0d888
	s_mov_b32 s47, 0x3feec746
	;; [unrolled: 1-line block ×5, first 2 shown]
	v_mul_f64 v[134:135], v[110:111], s[18:19]
	v_add_f64 v[34:35], v[38:39], v[34:35]
	v_add_f64 v[38:39], v[122:123], v[116:117]
	v_fma_f64 v[116:117], v[112:113], s[0:1], v[50:51]
	v_mul_f64 v[138:139], v[110:111], s[48:49]
	v_mul_f64 v[140:141], v[110:111], s[46:47]
	v_fma_f64 v[50:51], v[112:113], s[0:1], -v[50:51]
	v_fma_f64 v[122:123], v[112:113], s[2:3], v[54:55]
	v_fma_f64 v[54:55], v[112:113], s[2:3], -v[54:55]
	v_add_f64 v[30:31], v[30:31], v[34:35]
	v_fma_f64 v[34:35], v[112:113], s[6:7], v[62:63]
	v_fma_f64 v[62:63], v[112:113], s[6:7], -v[62:63]
	v_fma_f64 v[142:143], v[112:113], s[24:25], v[66:67]
	v_fma_f64 v[66:67], v[112:113], s[24:25], -v[66:67]
	;; [unrolled: 2-line block ×3, first 2 shown]
	v_fma_f64 v[146:147], v[112:113], s[28:29], v[118:119]
	v_add_f64 v[26:27], v[26:27], v[30:31]
	v_add_f64 v[34:35], v[2:3], v[34:35]
	v_fma_f64 v[30:31], v[112:113], s[28:29], -v[118:119]
	v_fma_f64 v[112:113], v[108:109], s[0:1], v[132:133]
	v_fma_f64 v[118:119], v[108:109], s[0:1], -v[132:133]
	v_fma_f64 v[132:133], v[108:109], s[6:7], v[42:43]
	v_add_f64 v[58:59], v[2:3], v[58:59]
	v_add_f64 v[46:47], v[2:3], v[46:47]
	;; [unrolled: 1-line block ×3, first 2 shown]
	v_fma_f64 v[26:27], v[108:109], s[28:29], v[136:137]
	s_mov_b32 s34, 0x910ea3b9
	s_mov_b32 s35, 0xbfeb34fa
	;; [unrolled: 1-line block ×4, first 2 shown]
	v_fma_f64 v[42:43], v[108:109], s[6:7], -v[42:43]
	v_fma_f64 v[148:149], v[108:109], s[16:17], v[134:135]
	v_add_f64 v[18:19], v[18:19], v[22:23]
	v_add_f64 v[22:23], v[2:3], v[114:115]
	v_add_f64 v[114:115], v[2:3], v[116:117]
	v_add_f64 v[26:27], v[26:27], v[34:35]
	v_mul_f64 v[34:35], v[106:107], s[14:15]
	v_fma_f64 v[134:135], v[108:109], s[16:17], -v[134:135]
	v_fma_f64 v[136:137], v[108:109], s[28:29], -v[136:137]
	v_fma_f64 v[150:151], v[108:109], s[34:35], v[138:139]
	v_add_f64 v[6:7], v[6:7], v[18:19]
	v_fma_f64 v[138:139], v[108:109], s[34:35], -v[138:139]
	v_fma_f64 v[152:153], v[108:109], s[24:25], v[140:141]
	v_fma_f64 v[140:141], v[108:109], s[24:25], -v[140:141]
	v_add_f64 v[50:51], v[2:3], v[50:51]
	v_add_f64 v[116:117], v[2:3], v[122:123]
	;; [unrolled: 1-line block ×13, first 2 shown]
	v_mul_f64 v[14:15], v[110:111], s[40:41]
	v_add_f64 v[22:23], v[118:119], v[46:47]
	v_add_f64 v[30:31], v[132:133], v[114:115]
	;; [unrolled: 1-line block ×3, first 2 shown]
	v_mul_f64 v[112:113], v[106:107], s[18:19]
	v_mul_f64 v[114:115], v[106:107], s[42:43]
	s_mov_b32 s43, 0x3fe58eea
	s_mov_b32 s42, s38
	v_fma_f64 v[58:59], v[108:109], s[8:9], v[14:15]
	v_fma_f64 v[14:15], v[108:109], s[8:9], -v[14:15]
	v_fma_f64 v[108:109], v[102:103], s[2:3], v[34:35]
	v_fma_f64 v[34:35], v[102:103], s[2:3], -v[34:35]
	v_add_f64 v[42:43], v[42:43], v[50:51]
	v_add_f64 v[46:47], v[148:149], v[116:117]
	;; [unrolled: 1-line block ×3, first 2 shown]
	v_mul_f64 v[116:117], v[106:107], s[42:43]
	v_add_f64 v[18:19], v[136:137], v[18:19]
	v_add_f64 v[2:3], v[14:15], v[2:3]
	;; [unrolled: 1-line block ×4, first 2 shown]
	v_mul_f64 v[22:23], v[106:107], s[46:47]
	v_fma_f64 v[34:35], v[102:103], s[16:17], v[112:113]
	v_fma_f64 v[108:109], v[102:103], s[16:17], -v[112:113]
	v_fma_f64 v[112:113], v[102:103], s[28:29], v[114:115]
	v_fma_f64 v[114:115], v[102:103], s[28:29], -v[114:115]
	v_add_f64 v[54:55], v[150:151], v[62:63]
	s_mov_b32 s45, 0xbfe0d888
	s_mov_b32 s44, s48
	v_fma_f64 v[118:119], v[102:103], s[24:25], v[22:23]
	v_add_f64 v[30:31], v[34:35], v[30:31]
	v_add_f64 v[34:35], v[108:109], v[42:43]
	;; [unrolled: 1-line block ×4, first 2 shown]
	v_mul_f64 v[50:51], v[106:107], s[22:23]
	v_fma_f64 v[22:23], v[102:103], s[24:25], -v[22:23]
	v_fma_f64 v[108:109], v[102:103], s[0:1], v[116:117]
	v_add_f64 v[110:111], v[140:141], v[130:131]
	v_mul_f64 v[106:107], v[106:107], s[44:45]
	v_add_f64 v[58:59], v[58:59], v[142:143]
	v_fma_f64 v[112:113], v[102:103], s[0:1], -v[116:117]
	v_add_f64 v[104:105], v[124:125], v[104:105]
	v_fma_f64 v[114:115], v[102:103], s[8:9], v[50:51]
	v_add_f64 v[18:19], v[22:23], v[18:19]
	v_add_f64 v[22:23], v[108:109], v[54:55]
	v_fma_f64 v[50:51], v[102:103], s[8:9], -v[50:51]
	v_mul_f64 v[54:55], v[100:101], s[36:37]
	v_fma_f64 v[108:109], v[102:103], s[34:35], v[106:107]
	v_fma_f64 v[102:103], v[102:103], s[34:35], -v[106:107]
	v_mul_f64 v[106:107], v[100:101], s[30:31]
	v_add_f64 v[62:63], v[138:139], v[66:67]
	v_add_f64 v[38:39], v[104:105], v[38:39]
	v_mul_f64 v[104:105], v[100:101], s[46:47]
	v_add_f64 v[50:51], v[50:51], v[110:111]
	v_fma_f64 v[110:111], v[96:97], s[6:7], v[54:55]
	v_fma_f64 v[54:55], v[96:97], s[6:7], -v[54:55]
	v_add_f64 v[58:59], v[108:109], v[58:59]
	v_add_f64 v[2:3], v[102:103], v[2:3]
	v_fma_f64 v[102:103], v[96:97], s[28:29], v[106:107]
	v_mul_f64 v[108:109], v[100:101], s[40:41]
	v_add_f64 v[66:67], v[152:153], v[122:123]
	v_add_f64 v[26:27], v[118:119], v[26:27]
	v_add_f64 v[62:63], v[112:113], v[62:63]
	v_add_f64 v[14:15], v[54:55], v[14:15]
	v_fma_f64 v[54:55], v[96:97], s[28:29], -v[106:107]
	v_mul_f64 v[106:107], v[100:101], s[14:15]
	v_add_f64 v[10:11], v[110:111], v[10:11]
	v_fma_f64 v[110:111], v[96:97], s[24:25], v[104:105]
	v_fma_f64 v[104:105], v[96:97], s[24:25], -v[104:105]
	v_add_f64 v[30:31], v[102:103], v[30:31]
	v_fma_f64 v[102:103], v[96:97], s[8:9], v[108:109]
	v_mul_f64 v[112:113], v[100:101], s[44:45]
	v_add_f64 v[34:35], v[54:55], v[34:35]
	v_fma_f64 v[54:55], v[96:97], s[2:3], v[106:107]
	v_add_f64 v[66:67], v[114:115], v[66:67]
	v_mul_f64 v[100:101], v[100:101], s[42:43]
	v_add_f64 v[46:47], v[104:105], v[46:47]
	v_fma_f64 v[104:105], v[96:97], s[2:3], -v[106:107]
	v_add_f64 v[26:27], v[102:103], v[26:27]
	v_fma_f64 v[102:103], v[96:97], s[34:35], v[112:113]
	v_mul_f64 v[106:107], v[56:57], s[26:27]
	v_add_f64 v[22:23], v[54:55], v[22:23]
	v_fma_f64 v[54:55], v[96:97], s[34:35], -v[112:113]
	v_fma_f64 v[108:109], v[96:97], s[8:9], -v[108:109]
	v_add_f64 v[98:99], v[126:127], v[98:99]
	v_add_f64 v[62:63], v[104:105], v[62:63]
	v_mul_f64 v[104:105], v[56:57], s[48:49]
	v_add_f64 v[66:67], v[102:103], v[66:67]
	v_fma_f64 v[102:103], v[96:97], s[0:1], v[100:101]
	v_fma_f64 v[96:97], v[96:97], s[0:1], -v[100:101]
	v_add_f64 v[50:51], v[54:55], v[50:51]
	v_fma_f64 v[54:55], v[52:53], s[24:25], v[106:107]
	v_fma_f64 v[100:101], v[52:53], s[24:25], -v[106:107]
	v_add_f64 v[38:39], v[98:99], v[38:39]
	v_fma_f64 v[106:107], v[52:53], s[34:35], v[104:105]
	v_mul_f64 v[98:99], v[56:57], s[42:43]
	v_add_f64 v[58:59], v[102:103], v[58:59]
	v_add_f64 v[2:3], v[96:97], v[2:3]
	v_mul_f64 v[96:97], v[56:57], s[14:15]
	v_add_f64 v[10:11], v[54:55], v[10:11]
	v_fma_f64 v[54:55], v[52:53], s[34:35], -v[104:105]
	v_mul_f64 v[102:103], v[56:57], s[30:31]
	s_mov_b32 s49, 0x3fefdd0d
	s_mov_b32 s48, s36
	v_add_f64 v[18:19], v[108:109], v[18:19]
	v_add_f64 v[14:15], v[100:101], v[14:15]
	;; [unrolled: 1-line block ×3, first 2 shown]
	v_fma_f64 v[100:101], v[52:53], s[0:1], v[98:99]
	v_fma_f64 v[98:99], v[52:53], s[0:1], -v[98:99]
	v_fma_f64 v[104:105], v[52:53], s[2:3], v[96:97]
	v_mul_f64 v[106:107], v[56:57], s[48:49]
	v_add_f64 v[34:35], v[54:55], v[34:35]
	v_fma_f64 v[54:55], v[52:53], s[2:3], -v[96:97]
	v_fma_f64 v[96:97], v[52:53], s[28:29], v[102:103]
	v_add_f64 v[42:43], v[110:111], v[42:43]
	v_mul_f64 v[56:57], v[56:57], s[18:19]
	v_add_f64 v[46:47], v[98:99], v[46:47]
	v_fma_f64 v[98:99], v[52:53], s[28:29], -v[102:103]
	v_add_f64 v[60:61], v[128:129], v[60:61]
	s_mov_b32 s15, 0x3feca52d
	v_add_f64 v[18:19], v[54:55], v[18:19]
	v_fma_f64 v[54:55], v[52:53], s[6:7], -v[106:107]
	v_add_f64 v[22:23], v[96:97], v[22:23]
	v_mul_f64 v[96:97], v[44:45], s[18:19]
	v_add_f64 v[42:43], v[100:101], v[42:43]
	v_fma_f64 v[100:101], v[52:53], s[6:7], v[106:107]
	v_add_f64 v[62:63], v[98:99], v[62:63]
	v_fma_f64 v[98:99], v[52:53], s[16:17], v[56:57]
	v_fma_f64 v[52:53], v[52:53], s[16:17], -v[56:57]
	v_add_f64 v[50:51], v[54:55], v[50:51]
	v_mul_f64 v[56:57], v[44:45], s[22:23]
	v_fma_f64 v[54:55], v[32:33], s[16:17], v[96:97]
	v_add_f64 v[38:39], v[60:61], v[38:39]
	v_add_f64 v[66:67], v[100:101], v[66:67]
	v_mul_f64 v[100:101], v[44:45], s[46:47]
	v_fma_f64 v[60:61], v[32:33], s[16:17], -v[96:97]
	v_add_f64 v[2:3], v[52:53], v[2:3]
	v_mul_f64 v[52:53], v[44:45], s[44:45]
	v_add_f64 v[58:59], v[98:99], v[58:59]
	v_add_f64 v[10:11], v[54:55], v[10:11]
	v_fma_f64 v[54:55], v[32:33], s[8:9], v[56:57]
	v_fma_f64 v[56:57], v[32:33], s[8:9], -v[56:57]
	v_fma_f64 v[96:97], v[32:33], s[24:25], v[100:101]
	v_add_f64 v[14:15], v[60:61], v[14:15]
	v_mul_f64 v[60:61], v[44:45], s[48:49]
	v_add_f64 v[36:37], v[36:37], v[48:49]
	v_fma_f64 v[98:99], v[32:33], s[24:25], -v[100:101]
	v_add_f64 v[24:25], v[28:29], v[24:25]
	v_add_f64 v[42:43], v[54:55], v[42:43]
	v_mul_f64 v[54:55], v[44:45], s[38:39]
	v_mul_f64 v[44:45], v[44:45], s[14:15]
	v_add_f64 v[30:31], v[96:97], v[30:31]
	v_fma_f64 v[96:97], v[32:33], s[34:35], v[52:53]
	v_fma_f64 v[52:53], v[32:33], s[34:35], -v[52:53]
	v_add_f64 v[46:47], v[56:57], v[46:47]
	v_fma_f64 v[56:57], v[32:33], s[6:7], v[60:61]
	v_add_f64 v[36:37], v[36:37], v[38:39]
	v_add_f64 v[34:35], v[98:99], v[34:35]
	v_fma_f64 v[48:49], v[32:33], s[2:3], v[44:45]
	v_add_f64 v[26:27], v[104:105], v[26:27]
	v_add_f64 v[4:5], v[12:13], v[4:5]
	;; [unrolled: 1-line block ×3, first 2 shown]
	v_fma_f64 v[52:53], v[32:33], s[6:7], -v[60:61]
	v_fma_f64 v[60:61], v[32:33], s[0:1], v[54:55]
	v_fma_f64 v[54:55], v[32:33], s[0:1], -v[54:55]
	v_add_f64 v[22:23], v[56:57], v[22:23]
	v_mul_f64 v[56:57], v[20:21], s[44:45]
	v_fma_f64 v[32:33], v[32:33], s[2:3], -v[44:45]
	v_add_f64 v[38:39], v[48:49], v[58:59]
	v_mul_f64 v[48:49], v[20:21], s[14:15]
	v_add_f64 v[44:45], v[52:53], v[62:63]
	v_add_f64 v[52:53], v[60:61], v[66:67]
	;; [unrolled: 1-line block ×4, first 2 shown]
	v_fma_f64 v[54:55], v[16:17], s[34:35], v[56:57]
	v_add_f64 v[2:3], v[32:33], v[2:3]
	v_mul_f64 v[32:33], v[20:21], s[36:37]
	v_fma_f64 v[56:57], v[16:17], s[34:35], -v[56:57]
	v_fma_f64 v[60:61], v[16:17], s[2:3], v[48:49]
	s_mov_b32 s37, 0x3fe9895b
	s_mov_b32 s36, s18
	v_mul_f64 v[58:59], v[20:21], s[36:37]
	v_fma_f64 v[48:49], v[16:17], s[2:3], -v[48:49]
	v_add_f64 v[10:11], v[54:55], v[10:11]
	v_fma_f64 v[54:55], v[16:17], s[6:7], v[32:33]
	v_add_f64 v[14:15], v[56:57], v[14:15]
	v_mul_f64 v[56:57], v[20:21], s[22:23]
	v_fma_f64 v[32:33], v[16:17], s[6:7], -v[32:33]
	v_add_f64 v[30:31], v[60:61], v[30:31]
	v_mul_f64 v[60:61], v[20:21], s[30:31]
	v_add_f64 v[34:35], v[48:49], v[34:35]
	v_fma_f64 v[48:49], v[16:17], s[16:17], -v[58:59]
	v_add_f64 v[42:43], v[54:55], v[42:43]
	v_mul_f64 v[20:21], v[20:21], s[26:27]
	v_fma_f64 v[54:55], v[16:17], s[8:9], v[56:57]
	v_add_f64 v[32:33], v[32:33], v[46:47]
	v_fma_f64 v[46:47], v[16:17], s[8:9], -v[56:57]
	v_fma_f64 v[56:57], v[16:17], s[28:29], v[60:61]
	v_fma_f64 v[62:63], v[16:17], s[16:17], v[58:59]
	v_add_f64 v[18:19], v[48:49], v[18:19]
	v_mul_f64 v[48:49], v[8:9], s[30:31]
	v_fma_f64 v[58:59], v[16:17], s[28:29], -v[60:61]
	v_add_f64 v[22:23], v[54:55], v[22:23]
	v_add_f64 v[26:27], v[96:97], v[26:27]
	;; [unrolled: 1-line block ×4, first 2 shown]
	v_mul_f64 v[52:53], v[8:9], s[40:41]
	v_fma_f64 v[46:47], v[16:17], s[24:25], v[20:21]
	v_fma_f64 v[16:17], v[16:17], s[24:25], -v[20:21]
	v_fma_f64 v[20:21], v[0:1], s[28:29], v[48:49]
	v_fma_f64 v[36:37], v[0:1], s[28:29], -v[48:49]
	v_mul_f64 v[48:49], v[8:9], s[44:45]
	v_add_f64 v[26:27], v[62:63], v[26:27]
	v_add_f64 v[50:51], v[58:59], v[50:51]
	v_fma_f64 v[54:55], v[0:1], s[8:9], v[52:53]
	v_add_f64 v[38:39], v[46:47], v[38:39]
	v_mul_f64 v[46:47], v[8:9], s[42:43]
	v_add_f64 v[2:3], v[16:17], v[2:3]
	v_fma_f64 v[16:17], v[0:1], s[8:9], -v[52:53]
	v_add_f64 v[14:15], v[36:37], v[14:15]
	v_fma_f64 v[36:37], v[0:1], s[34:35], -v[48:49]
	v_mul_f64 v[52:53], v[8:9], s[18:19]
	v_add_f64 v[10:11], v[20:21], v[10:11]
	v_fma_f64 v[20:21], v[0:1], s[34:35], v[48:49]
	v_add_f64 v[30:31], v[54:55], v[30:31]
	v_mul_f64 v[54:55], v[8:9], s[14:15]
	v_mul_f64 v[8:9], v[8:9], s[48:49]
	v_fma_f64 v[48:49], v[0:1], s[0:1], v[46:47]
	v_add_f64 v[32:33], v[36:37], v[32:33]
	v_fma_f64 v[36:37], v[0:1], s[16:17], v[52:53]
	v_add_f64 v[16:17], v[16:17], v[34:35]
	v_add_f64 v[20:21], v[20:21], v[42:43]
	v_fma_f64 v[34:35], v[0:1], s[0:1], -v[46:47]
	v_fma_f64 v[42:43], v[0:1], s[2:3], v[54:55]
	v_fma_f64 v[12:13], v[0:1], s[6:7], v[8:9]
	v_fma_f64 v[8:9], v[0:1], s[6:7], -v[8:9]
	v_fma_f64 v[46:47], v[0:1], s[2:3], -v[54:55]
	;; [unrolled: 1-line block ×3, first 2 shown]
	v_add_f64 v[26:27], v[48:49], v[26:27]
	v_add_f64 v[22:23], v[36:37], v[22:23]
	;; [unrolled: 1-line block ×9, first 2 shown]
	v_lshl_add_u32 v24, v90, 7, v91
	ds_write2_b64 v24, v[6:7], v[10:11] offset1:1
	ds_write2_b64 v24, v[30:31], v[20:21] offset0:2 offset1:3
	ds_write2_b64 v24, v[26:27], v[22:23] offset0:4 offset1:5
	;; [unrolled: 1-line block ×7, first 2 shown]
	ds_write_b64 v24, v[14:15] offset:128
.LBB0_15:
	s_or_b64 exec, exec, s[20:21]
	s_movk_i32 s0, 0xf1
	v_mul_lo_u16_sdwa v0, v90, s0 dst_sel:DWORD dst_unused:UNUSED_PAD src0_sel:BYTE_0 src1_sel:DWORD
	v_lshrrev_b16_e32 v110, 12, v0
	v_mul_lo_u16_e32 v0, 17, v110
	v_sub_u16_e32 v111, v90, v0
	v_mov_b32_e32 v0, 9
	v_mul_u32_u24_sdwa v0, v111, v0 dst_sel:DWORD dst_unused:UNUSED_PAD src0_sel:BYTE_0 src1_sel:DWORD
	v_lshlrev_b32_e32 v4, 4, v0
	s_load_dwordx2 s[2:3], s[4:5], 0x0
	s_waitcnt lgkmcnt(0)
	s_barrier
	global_load_dwordx4 v[0:3], v4, s[12:13]
	global_load_dwordx4 v[8:11], v4, s[12:13] offset:16
	global_load_dwordx4 v[12:15], v4, s[12:13] offset:32
	;; [unrolled: 1-line block ×8, first 2 shown]
	ds_read2_b64 v[4:7], v91 offset1:187
	ds_read2_b64 v[28:31], v64 offset0:54 offset1:241
	ds_read2_b64 v[60:63], v65 offset0:44 offset1:231
	;; [unrolled: 1-line block ×4, first 2 shown]
	s_mov_b32 s14, 0x134454ff
	s_mov_b32 s15, 0x3fee6f0e
	s_mov_b32 s8, 0x4755a5e
	s_mov_b32 s9, 0x3fe2cf23
	s_mov_b32 s7, 0xbfee6f0e
	s_mov_b32 s6, s14
	s_mov_b32 s4, 0x372fe950
	s_mov_b32 s5, 0x3fd3c6ef
	s_mov_b32 s17, 0xbfe2cf23
	s_mov_b32 s16, s8
	s_mov_b32 s18, 0x9b97f4a8
	s_mov_b32 s19, 0x3fe9e377
	s_movk_i32 s0, 0xaa
	v_cmp_gt_u32_e64 s[0:1], s0, v90
	s_waitcnt vmcnt(0) lgkmcnt(0)
	s_barrier
	v_mul_f64 v[32:33], v[6:7], v[2:3]
	v_mul_f64 v[2:3], v[70:71], v[2:3]
	;; [unrolled: 1-line block ×17, first 2 shown]
	v_fma_f64 v[70:71], v[70:71], v[0:1], -v[32:33]
	v_fma_f64 v[34:35], v[6:7], v[0:1], v[2:3]
	v_fma_f64 v[42:43], v[84:85], v[8:9], -v[36:37]
	v_fma_f64 v[0:1], v[86:87], v[12:13], -v[44:45]
	;; [unrolled: 1-line block ×4, first 2 shown]
	v_mul_f64 v[18:19], v[80:81], v[18:19]
	v_fma_f64 v[38:39], v[28:29], v[8:9], v[10:11]
	v_fma_f64 v[36:37], v[30:31], v[12:13], v[14:15]
	v_fma_f64 v[2:3], v[82:83], v[20:21], -v[100:101]
	v_fma_f64 v[30:31], v[62:63], v[20:21], v[22:23]
	v_fma_f64 v[28:29], v[64:65], v[24:25], v[26:27]
	;; [unrolled: 1-line block ×3, first 2 shown]
	v_fma_f64 v[8:9], v[78:79], v[48:49], -v[104:105]
	v_fma_f64 v[26:27], v[66:67], v[48:49], v[50:51]
	v_fma_f64 v[48:49], v[72:73], v[52:53], -v[106:107]
	v_fma_f64 v[10:11], v[74:75], v[56:57], -v[108:109]
	v_fma_f64 v[24:25], v[98:99], v[56:57], v[58:59]
	v_add_f64 v[12:13], v[68:69], v[42:43]
	v_add_f64 v[14:15], v[44:45], v[46:47]
	v_fma_f64 v[32:33], v[60:61], v[16:17], v[18:19]
	v_add_f64 v[16:17], v[38:39], -v[6:7]
	v_add_f64 v[20:21], v[42:43], -v[44:45]
	;; [unrolled: 1-line block ×3, first 2 shown]
	v_add_f64 v[50:51], v[42:43], v[48:49]
	v_add_f64 v[52:53], v[44:45], -v[42:43]
	v_add_f64 v[54:55], v[46:47], -v[48:49]
	v_add_f64 v[56:57], v[70:71], v[0:1]
	v_add_f64 v[58:59], v[2:3], v[8:9]
	v_add_f64 v[64:65], v[0:1], -v[2:3]
	v_add_f64 v[66:67], v[10:11], -v[8:9]
	v_add_f64 v[72:73], v[0:1], v[10:11]
	v_add_f64 v[78:79], v[30:31], v[26:27]
	;; [unrolled: 1-line block ×4, first 2 shown]
	v_fma_f64 v[14:15], v[14:15], -0.5, v[68:69]
	v_add_f64 v[18:19], v[32:33], -v[28:29]
	v_add_f64 v[60:61], v[36:37], -v[24:25]
	;; [unrolled: 1-line block ×9, first 2 shown]
	v_add_f64 v[20:21], v[20:21], v[22:23]
	v_fma_f64 v[22:23], v[50:51], -0.5, v[68:69]
	v_add_f64 v[68:69], v[52:53], v[54:55]
	v_add_f64 v[2:3], v[56:57], v[2:3]
	v_fma_f64 v[50:51], v[58:59], -0.5, v[70:71]
	v_add_f64 v[54:55], v[64:65], v[66:67]
	v_fma_f64 v[52:53], v[72:73], -0.5, v[70:71]
	v_fma_f64 v[56:57], v[78:79], -0.5, v[34:35]
	;; [unrolled: 1-line block ×3, first 2 shown]
	v_add_f64 v[12:13], v[12:13], v[46:47]
	v_fma_f64 v[72:73], v[16:17], s[14:15], v[14:15]
	v_add_f64 v[96:97], v[30:31], -v[36:37]
	v_add_f64 v[98:99], v[26:27], -v[24:25]
	v_add_f64 v[58:59], v[74:75], v[76:77]
	v_add_f64 v[66:67], v[82:83], v[84:85]
	v_fma_f64 v[14:15], v[16:17], s[6:7], v[14:15]
	v_fma_f64 v[74:75], v[18:19], s[6:7], v[22:23]
	;; [unrolled: 1-line block ×3, first 2 shown]
	v_add_f64 v[2:3], v[2:3], v[8:9]
	v_fma_f64 v[8:9], v[60:61], s[14:15], v[50:51]
	v_fma_f64 v[50:51], v[60:61], s[6:7], v[50:51]
	v_fma_f64 v[76:77], v[62:63], s[6:7], v[52:53]
	v_fma_f64 v[52:53], v[62:63], s[14:15], v[52:53]
	v_fma_f64 v[78:79], v[0:1], s[6:7], v[56:57]
	v_fma_f64 v[82:83], v[80:81], s[14:15], v[64:65]
	v_add_f64 v[84:85], v[12:13], v[48:49]
	v_fma_f64 v[12:13], v[18:19], s[8:9], v[72:73]
	v_add_f64 v[70:71], v[96:97], v[98:99]
	v_fma_f64 v[56:57], v[0:1], s[14:15], v[56:57]
	v_fma_f64 v[64:65], v[80:81], s[6:7], v[64:65]
	v_fma_f64 v[14:15], v[18:19], s[16:17], v[14:15]
	v_fma_f64 v[18:19], v[16:17], s[8:9], v[74:75]
	v_fma_f64 v[16:17], v[16:17], s[16:17], v[22:23]
	v_fma_f64 v[8:9], v[62:63], s[8:9], v[8:9]
	v_fma_f64 v[22:23], v[80:81], s[16:17], v[78:79]
	v_fma_f64 v[50:51], v[62:63], s[16:17], v[50:51]
	v_fma_f64 v[72:73], v[0:1], s[16:17], v[82:83]
	v_fma_f64 v[74:75], v[20:21], s[4:5], v[12:13]
	v_fma_f64 v[12:13], v[60:61], s[16:17], v[52:53]
	v_fma_f64 v[60:61], v[60:61], s[8:9], v[76:77]
	v_fma_f64 v[76:77], v[80:81], s[8:9], v[56:57]
	v_fma_f64 v[0:1], v[0:1], s[8:9], v[64:65]
	v_fma_f64 v[52:53], v[66:67], s[4:5], v[22:23]
	v_fma_f64 v[62:63], v[54:55], s[4:5], v[8:9]
	v_fma_f64 v[50:51], v[54:55], s[4:5], v[50:51]
	v_fma_f64 v[56:57], v[70:71], s[4:5], v[72:73]
	v_fma_f64 v[54:55], v[58:59], s[4:5], v[12:13]
	v_fma_f64 v[64:65], v[58:59], s[4:5], v[60:61]
	v_fma_f64 v[58:59], v[66:67], s[4:5], v[76:77]
	v_fma_f64 v[60:61], v[70:71], s[4:5], v[0:1]
	v_mul_f64 v[0:1], v[52:53], s[8:9]
	v_fma_f64 v[66:67], v[20:21], s[4:5], v[14:15]
	v_mul_f64 v[22:23], v[50:51], s[18:19]
	v_mul_f64 v[8:9], v[56:57], s[14:15]
	;; [unrolled: 1-line block ×3, first 2 shown]
	v_fma_f64 v[18:19], v[68:69], s[4:5], v[18:19]
	v_fma_f64 v[16:17], v[68:69], s[4:5], v[16:17]
	v_add_f64 v[14:15], v[2:3], v[10:11]
	v_fma_f64 v[20:21], v[62:63], s[18:19], v[0:1]
	v_fma_f64 v[72:73], v[58:59], s[8:9], -v[22:23]
	v_fma_f64 v[68:69], v[64:65], s[4:5], v[8:9]
	v_fma_f64 v[70:71], v[60:61], s[14:15], -v[12:13]
	v_add_f64 v[0:1], v[84:85], v[14:15]
	v_add_f64 v[2:3], v[74:75], v[20:21]
	v_add_f64 v[14:15], v[84:85], -v[14:15]
	v_add_f64 v[12:13], v[66:67], v[72:73]
	v_add_f64 v[8:9], v[18:19], v[68:69]
	;; [unrolled: 1-line block ×3, first 2 shown]
	v_add_f64 v[20:21], v[74:75], -v[20:21]
	v_add_f64 v[22:23], v[18:19], -v[68:69]
	;; [unrolled: 1-line block ×4, first 2 shown]
	v_mov_b32_e32 v67, 3
	v_mul_u32_u24_e32 v66, 0x550, v110
	v_lshlrev_b32_sdwa v67, v67, v111 dst_sel:DWORD dst_unused:UNUSED_PAD src0_sel:DWORD src1_sel:BYTE_0
	v_add3_u32 v66, 0, v66, v67
	ds_write2_b64 v66, v[0:1], v[2:3] offset1:17
	ds_write2_b64 v66, v[8:9], v[10:11] offset0:34 offset1:51
	ds_write2_b64 v66, v[12:13], v[14:15] offset0:68 offset1:85
	ds_write2_b64 v66, v[20:21], v[22:23] offset0:102 offset1:119
	ds_write2_b64 v66, v[16:17], v[18:19] offset0:136 offset1:153
	s_waitcnt lgkmcnt(0)
	s_barrier
	s_and_saveexec_b64 s[20:21], s[0:1]
	s_cbranch_execz .LBB0_17
; %bb.16:
	v_add_u32_e32 v16, 0x1e00, v91
	v_add_u32_e32 v8, 0x800, v91
	v_add_u32_e32 v12, 0x1400, v91
	ds_read2_b64 v[20:23], v16 offset0:60 offset1:230
	v_add_u32_e32 v16, 0x2800, v91
	ds_read2_b64 v[0:3], v91 offset1:170
	ds_read2_b64 v[8:11], v8 offset0:84 offset1:254
	ds_read2_b64 v[12:15], v12 offset0:40 offset1:210
	;; [unrolled: 1-line block ×3, first 2 shown]
	ds_read_b64 v[94:95], v91 offset:13600
.LBB0_17:
	s_or_b64 exec, exec, s[20:21]
	v_add_f64 v[67:68], v[32:33], v[28:29]
	v_add_f64 v[69:70], v[38:39], v[6:7]
	v_add_f64 v[71:72], v[4:5], v[38:39]
	v_add_f64 v[42:43], v[42:43], -v[48:49]
	v_add_f64 v[44:45], v[44:45], -v[46:47]
	v_add_f64 v[34:35], v[34:35], v[36:37]
	v_add_f64 v[46:47], v[38:39], -v[32:33]
	v_add_f64 v[48:49], v[6:7], -v[28:29]
	v_fma_f64 v[67:68], v[67:68], -0.5, v[4:5]
	v_fma_f64 v[4:5], v[69:70], -0.5, v[4:5]
	v_add_f64 v[38:39], v[32:33], -v[38:39]
	v_add_f64 v[69:70], v[28:29], -v[6:7]
	v_mul_f64 v[36:37], v[62:63], s[16:17]
	v_mul_f64 v[62:63], v[64:65], s[6:7]
	v_add_f64 v[32:33], v[71:72], v[32:33]
	v_add_f64 v[30:31], v[34:35], v[30:31]
	v_fma_f64 v[64:65], v[42:43], s[6:7], v[67:68]
	v_fma_f64 v[67:68], v[42:43], s[14:15], v[67:68]
	;; [unrolled: 1-line block ×4, first 2 shown]
	v_add_f64 v[34:35], v[46:47], v[48:49]
	v_add_f64 v[38:39], v[38:39], v[69:70]
	;; [unrolled: 1-line block ×4, first 2 shown]
	v_fma_f64 v[32:33], v[44:45], s[16:17], v[64:65]
	v_fma_f64 v[44:45], v[44:45], s[8:9], v[67:68]
	;; [unrolled: 1-line block ×4, first 2 shown]
	v_mul_f64 v[30:31], v[60:61], s[4:5]
	v_mul_f64 v[42:43], v[58:59], s[18:19]
	v_add_f64 v[48:49], v[28:29], v[6:7]
	v_fma_f64 v[36:37], v[52:53], s[18:19], v[36:37]
	v_fma_f64 v[32:33], v[34:35], s[4:5], v[32:33]
	;; [unrolled: 1-line block ×5, first 2 shown]
	v_add_f64 v[38:39], v[26:27], v[24:25]
	v_fma_f64 v[52:53], v[56:57], s[4:5], v[62:63]
	v_fma_f64 v[54:55], v[54:55], s[6:7], -v[30:31]
	v_fma_f64 v[42:43], v[50:51], s[16:17], -v[42:43]
	v_add_f64 v[6:7], v[32:33], v[36:37]
	v_add_f64 v[36:37], v[32:33], -v[36:37]
	s_waitcnt lgkmcnt(0)
	s_barrier
	v_add_f64 v[4:5], v[48:49], v[38:39]
	v_add_f64 v[24:25], v[44:45], v[52:53]
	;; [unrolled: 1-line block ×4, first 2 shown]
	v_add_f64 v[30:31], v[48:49], -v[38:39]
	v_add_f64 v[38:39], v[44:45], -v[52:53]
	;; [unrolled: 1-line block ×4, first 2 shown]
	ds_write2_b64 v66, v[4:5], v[6:7] offset1:17
	ds_write2_b64 v66, v[24:25], v[26:27] offset0:34 offset1:51
	ds_write2_b64 v66, v[28:29], v[30:31] offset0:68 offset1:85
	;; [unrolled: 1-line block ×4, first 2 shown]
	s_waitcnt lgkmcnt(0)
	s_barrier
	s_and_saveexec_b64 s[4:5], s[0:1]
	s_cbranch_execnz .LBB0_20
; %bb.18:
	s_or_b64 exec, exec, s[4:5]
	s_and_b64 s[0:1], vcc, s[0:1]
	s_and_saveexec_b64 s[4:5], s[0:1]
	s_cbranch_execnz .LBB0_21
.LBB0_19:
	s_endpgm
.LBB0_20:
	v_add_u32_e32 v32, 0x1e00, v91
	v_add_u32_e32 v24, 0x800, v91
	;; [unrolled: 1-line block ×3, first 2 shown]
	ds_read2_b64 v[36:39], v32 offset0:60 offset1:230
	v_add_u32_e32 v32, 0x2800, v91
	ds_read2_b64 v[4:7], v91 offset1:170
	ds_read2_b64 v[24:27], v24 offset0:84 offset1:254
	ds_read2_b64 v[28:31], v28 offset0:40 offset1:210
	;; [unrolled: 1-line block ×3, first 2 shown]
	ds_read_b64 v[40:41], v91 offset:13600
	s_or_b64 exec, exec, s[4:5]
	s_and_b64 s[0:1], vcc, s[0:1]
	s_and_saveexec_b64 s[4:5], s[0:1]
	s_cbranch_execz .LBB0_19
.LBB0_21:
	v_mul_u32_u24_e32 v42, 10, v90
	v_lshlrev_b32_e32 v42, 4, v42
	global_load_dwordx4 v[44:47], v42, s[12:13] offset:2512
	global_load_dwordx4 v[48:51], v42, s[12:13] offset:2528
	;; [unrolled: 1-line block ×10, first 2 shown]
	v_mul_lo_u32 v84, s3, v92
	v_mul_lo_u32 v85, s2, v93
	v_mad_u64_u32 v[42:43], s[0:1], s2, v92, 0
	s_mov_b32 s8, 0x9bcd5057
	s_mov_b32 s24, 0xfd768dbf
	v_add3_u32 v43, v43, v85, v84
	s_mov_b32 s9, 0xbfeeb42a
	s_mov_b32 s25, 0x3fd207e7
	s_mov_b32 s27, 0xbfd207e7
	s_mov_b32 s26, s24
	s_mov_b32 s12, 0x8764f0ba
	s_mov_b32 s18, 0xf8bb580b
	s_mov_b32 s13, 0x3feaeb8c
	s_mov_b32 s19, 0xbfe14ced
	s_mov_b32 s31, 0x3fe14ced
	s_mov_b32 s30, s18
	s_mov_b32 s0, 0x7f775887
	s_mov_b32 s14, 0xbb3a28a1
	s_mov_b32 s1, 0xbfe4f49e
	s_mov_b32 s15, 0x3fe82f19
	s_mov_b32 s23, 0xbfe82f19
	s_mov_b32 s22, s14
	s_mov_b32 s4, 0xd9c712b6
	s_mov_b32 s6, 0x8eee2c13
	s_mov_b32 s5, 0x3fda9628
	s_mov_b32 s7, 0xbfed1bb4
	s_mov_b32 s29, 0x3fed1bb4
	s_mov_b32 s28, s6
	s_mov_b32 s2, 0x640f44db
	s_mov_b32 s3, 0xbfc2375f
	s_mov_b32 s16, 0x43842ef
	s_mov_b32 s17, 0x3fefac9e
	s_mov_b32 s21, 0xbfefac9e
	s_mov_b32 s20, s16
	s_waitcnt vmcnt(9) lgkmcnt(2)
	v_mul_f64 v[84:85], v[30:31], v[44:45]
	v_mul_f64 v[30:31], v[30:31], v[46:47]
	s_waitcnt vmcnt(8)
	v_mul_f64 v[86:87], v[36:37], v[48:49]
	v_mul_f64 v[36:37], v[36:37], v[50:51]
	s_waitcnt vmcnt(7)
	v_mul_f64 v[91:92], v[28:29], v[52:53]
	s_waitcnt vmcnt(4) lgkmcnt(1)
	v_mul_f64 v[102:103], v[32:33], v[64:65]
	v_mul_f64 v[32:33], v[32:33], v[66:67]
	s_waitcnt vmcnt(3)
	v_mul_f64 v[106:107], v[24:25], v[68:69]
	s_waitcnt vmcnt(1)
	v_mul_f64 v[112:113], v[6:7], v[76:77]
	s_waitcnt vmcnt(0) lgkmcnt(0)
	v_mul_f64 v[114:115], v[40:41], v[80:81]
	v_mul_f64 v[96:97], v[38:39], v[56:57]
	;; [unrolled: 1-line block ×10, first 2 shown]
	v_fma_f64 v[28:29], v[14:15], v[46:47], v[84:85]
	v_fma_f64 v[30:31], v[14:15], v[44:45], -v[30:31]
	v_fma_f64 v[14:15], v[16:17], v[64:65], -v[32:33]
	v_fma_f64 v[64:65], v[8:9], v[70:71], v[106:107]
	v_fma_f64 v[70:71], v[2:3], v[78:79], v[112:113]
	;; [unrolled: 1-line block ×4, first 2 shown]
	v_fma_f64 v[26:27], v[20:21], v[48:49], -v[36:37]
	v_fma_f64 v[84:85], v[12:13], v[54:55], v[91:92]
	v_fma_f64 v[20:21], v[22:23], v[58:59], v[96:97]
	v_fma_f64 v[86:87], v[12:13], v[52:53], -v[98:99]
	v_fma_f64 v[91:92], v[10:11], v[62:63], v[100:101]
	v_fma_f64 v[12:13], v[16:17], v[66:67], v[102:103]
	v_fma_f64 v[66:67], v[10:11], v[60:61], -v[104:105]
	v_fma_f64 v[10:11], v[18:19], v[74:75], v[108:109]
	v_fma_f64 v[68:69], v[8:9], v[68:69], -v[110:111]
	v_fma_f64 v[8:9], v[18:19], v[72:73], -v[34:35]
	;; [unrolled: 1-line block ×4, first 2 shown]
	v_add_f64 v[60:61], v[70:71], v[6:7]
	v_add_f64 v[97:98], v[70:71], -v[6:7]
	v_mul_f64 v[38:39], v[38:39], v[58:59]
	v_add_f64 v[82:83], v[64:65], v[10:11]
	v_add_f64 v[105:106], v[64:65], -v[10:11]
	v_add_f64 v[78:79], v[91:92], v[12:13]
	v_add_f64 v[93:94], v[68:69], -v[8:9]
	v_add_f64 v[95:96], v[72:73], -v[2:3]
	v_add_f64 v[107:108], v[72:73], v[2:3]
	v_mul_f64 v[34:35], v[60:61], s[8:9]
	v_mul_f64 v[36:37], v[97:98], s[26:27]
	v_fma_f64 v[22:23], v[22:23], v[56:57], -v[38:39]
	v_add_f64 v[111:112], v[91:92], -v[12:13]
	v_add_f64 v[113:114], v[68:69], v[8:9]
	v_mul_f64 v[38:39], v[82:83], s[12:13]
	v_mul_f64 v[40:41], v[105:106], s[30:31]
	v_add_f64 v[76:77], v[84:85], v[20:21]
	v_fma_f64 v[46:47], v[95:96], s[24:25], v[34:35]
	v_fma_f64 v[48:49], v[107:108], s[8:9], v[36:37]
	;; [unrolled: 1-line block ×3, first 2 shown]
	v_add_f64 v[80:81], v[66:67], -v[14:15]
	v_add_f64 v[103:104], v[84:85], -v[20:21]
	v_add_f64 v[109:110], v[66:67], v[14:15]
	v_mul_f64 v[50:51], v[78:79], s[0:1]
	v_mul_f64 v[52:53], v[111:112], s[22:23]
	v_fma_f64 v[54:55], v[93:94], s[18:19], v[38:39]
	v_fma_f64 v[56:57], v[113:114], s[12:13], v[40:41]
	;; [unrolled: 1-line block ×3, first 2 shown]
	v_add_f64 v[46:47], v[4:5], v[46:47]
	v_add_f64 v[48:49], v[0:1], v[48:49]
	;; [unrolled: 1-line block ×4, first 2 shown]
	v_add_f64 v[32:33], v[86:87], -v[22:23]
	v_add_f64 v[101:102], v[86:87], v[22:23]
	v_mul_f64 v[58:59], v[76:77], s[4:5]
	v_mul_f64 v[62:63], v[103:104], s[28:29]
	v_fma_f64 v[115:116], v[80:81], s[14:15], v[50:51]
	v_fma_f64 v[117:118], v[109:110], s[0:1], v[52:53]
	;; [unrolled: 1-line block ×3, first 2 shown]
	v_add_f64 v[46:47], v[54:55], v[46:47]
	v_add_f64 v[48:49], v[56:57], v[48:49]
	;; [unrolled: 1-line block ×3, first 2 shown]
	v_add_f64 v[16:17], v[30:31], -v[26:27]
	v_add_f64 v[99:100], v[28:29], -v[24:25]
	v_mul_f64 v[44:45], v[74:75], s[2:3]
	v_fma_f64 v[56:57], v[32:33], s[6:7], v[58:59]
	v_fma_f64 v[119:120], v[101:102], s[4:5], v[62:63]
	;; [unrolled: 1-line block ×3, first 2 shown]
	v_add_f64 v[46:47], v[115:116], v[46:47]
	v_add_f64 v[48:49], v[117:118], v[48:49]
	;; [unrolled: 1-line block ×3, first 2 shown]
	v_fma_f64 v[36:37], v[107:108], s[8:9], -v[36:37]
	v_add_f64 v[18:19], v[30:31], v[26:27]
	v_mul_f64 v[38:39], v[99:100], s[20:21]
	v_mul_f64 v[54:55], v[60:61], s[0:1]
	v_fma_f64 v[50:51], v[16:17], s[16:17], v[44:45]
	v_fma_f64 v[44:45], v[16:17], s[20:21], v[44:45]
	v_fma_f64 v[117:118], v[113:114], s[12:13], -v[40:41]
	v_add_f64 v[40:41], v[56:57], v[46:47]
	v_add_f64 v[46:47], v[119:120], v[48:49]
	v_add_f64 v[48:49], v[58:59], v[34:35]
	v_add_f64 v[56:57], v[0:1], v[36:37]
	v_mul_f64 v[119:120], v[97:98], s[22:23]
	v_fma_f64 v[115:116], v[18:19], s[2:3], v[38:39]
	v_mul_f64 v[58:59], v[82:83], s[2:3]
	v_fma_f64 v[52:53], v[109:110], s[0:1], -v[52:53]
	v_fma_f64 v[121:122], v[95:96], s[14:15], v[54:55]
	v_add_f64 v[36:37], v[50:51], v[40:41]
	v_add_f64 v[40:41], v[44:45], v[48:49]
	;; [unrolled: 1-line block ×3, first 2 shown]
	v_mul_f64 v[48:49], v[105:106], s[16:17]
	v_fma_f64 v[50:51], v[107:108], s[0:1], v[119:120]
	v_add_f64 v[34:35], v[115:116], v[46:47]
	v_fma_f64 v[46:47], v[101:102], s[4:5], -v[62:63]
	v_mul_f64 v[56:57], v[78:79], s[12:13]
	v_fma_f64 v[62:63], v[93:94], s[20:21], v[58:59]
	v_add_f64 v[115:116], v[4:5], v[121:122]
	v_add_f64 v[44:45], v[52:53], v[44:45]
	v_mul_f64 v[52:53], v[111:112], s[18:19]
	v_fma_f64 v[54:55], v[95:96], s[22:23], v[54:55]
	v_fma_f64 v[117:118], v[113:114], s[2:3], v[48:49]
	v_add_f64 v[50:51], v[0:1], v[50:51]
	v_mul_f64 v[121:122], v[76:77], s[8:9]
	v_fma_f64 v[123:124], v[80:81], s[30:31], v[56:57]
	v_add_f64 v[62:63], v[62:63], v[115:116]
	v_mul_f64 v[115:116], v[103:104], s[26:27]
	v_fma_f64 v[58:59], v[93:94], s[16:17], v[58:59]
	v_add_f64 v[54:55], v[4:5], v[54:55]
	v_fma_f64 v[125:126], v[109:110], s[12:13], v[52:53]
	v_add_f64 v[50:51], v[117:118], v[50:51]
	v_mul_f64 v[117:118], v[74:75], s[4:5]
	v_fma_f64 v[127:128], v[32:33], s[24:25], v[121:122]
	v_add_f64 v[62:63], v[123:124], v[62:63]
	v_mul_f64 v[123:124], v[99:100], s[28:29]
	v_fma_f64 v[56:57], v[80:81], s[18:19], v[56:57]
	v_add_f64 v[54:55], v[58:59], v[54:55]
	v_fma_f64 v[58:59], v[101:102], s[8:9], v[115:116]
	v_add_f64 v[50:51], v[125:126], v[50:51]
	v_fma_f64 v[119:120], v[107:108], s[0:1], -v[119:120]
	v_fma_f64 v[38:39], v[18:19], s[2:3], -v[38:39]
	v_add_f64 v[44:45], v[46:47], v[44:45]
	v_fma_f64 v[46:47], v[16:17], s[6:7], v[117:118]
	v_add_f64 v[62:63], v[127:128], v[62:63]
	v_fma_f64 v[121:122], v[32:33], s[26:27], v[121:122]
	;; [unrolled: 2-line block ×4, first 2 shown]
	v_fma_f64 v[48:49], v[113:114], s[2:3], -v[48:49]
	v_mul_f64 v[117:118], v[60:61], s[2:3]
	v_add_f64 v[119:120], v[0:1], v[119:120]
	v_add_f64 v[38:39], v[38:39], v[44:45]
	;; [unrolled: 1-line block ×5, first 2 shown]
	v_fma_f64 v[52:53], v[109:110], s[12:13], -v[52:53]
	v_mul_f64 v[56:57], v[97:98], s[20:21]
	v_mul_f64 v[62:63], v[82:83], s[8:9]
	v_fma_f64 v[121:122], v[95:96], s[16:17], v[117:118]
	v_add_f64 v[48:49], v[48:49], v[119:120]
	v_add_f64 v[50:51], v[58:59], v[54:55]
	v_fma_f64 v[54:55], v[101:102], s[8:9], -v[115:116]
	v_mul_f64 v[58:59], v[78:79], s[4:5]
	v_mul_f64 v[115:116], v[105:106], s[24:25]
	v_fma_f64 v[119:120], v[107:108], s[2:3], v[56:57]
	v_fma_f64 v[125:126], v[93:94], s[26:27], v[62:63]
	v_add_f64 v[121:122], v[4:5], v[121:122]
	v_add_f64 v[48:49], v[52:53], v[48:49]
	v_fma_f64 v[52:53], v[18:19], s[4:5], -v[123:124]
	v_mul_f64 v[123:124], v[76:77], s[12:13]
	v_mul_f64 v[127:128], v[111:112], s[28:29]
	v_fma_f64 v[129:130], v[113:114], s[8:9], v[115:116]
	v_add_f64 v[119:120], v[0:1], v[119:120]
	v_fma_f64 v[131:132], v[80:81], s[6:7], v[58:59]
	v_add_f64 v[121:122], v[125:126], v[121:122]
	v_add_f64 v[48:49], v[54:55], v[48:49]
	v_fma_f64 v[117:118], v[95:96], s[20:21], v[117:118]
	v_mul_f64 v[125:126], v[103:104], s[18:19]
	v_fma_f64 v[133:134], v[109:110], s[4:5], v[127:128]
	v_fma_f64 v[56:57], v[107:108], s[2:3], -v[56:57]
	v_add_f64 v[119:120], v[129:130], v[119:120]
	v_fma_f64 v[129:130], v[32:33], s[30:31], v[123:124]
	v_add_f64 v[121:122], v[131:132], v[121:122]
	v_add_f64 v[48:49], v[52:53], v[48:49]
	v_fma_f64 v[52:53], v[93:94], s[24:25], v[62:63]
	v_add_f64 v[62:63], v[4:5], v[117:118]
	v_fma_f64 v[131:132], v[101:102], s[12:13], v[125:126]
	v_fma_f64 v[58:59], v[80:81], s[28:29], v[58:59]
	v_add_f64 v[119:120], v[133:134], v[119:120]
	v_mul_f64 v[135:136], v[97:98], s[6:7]
	v_add_f64 v[121:122], v[129:130], v[121:122]
	v_mul_f64 v[129:130], v[60:61], s[4:5]
	v_fma_f64 v[115:116], v[113:114], s[8:9], -v[115:116]
	v_add_f64 v[52:53], v[52:53], v[62:63]
	v_add_f64 v[56:57], v[0:1], v[56:57]
	v_mul_f64 v[139:140], v[105:106], s[22:23]
	v_add_f64 v[119:120], v[131:132], v[119:120]
	v_mul_f64 v[131:132], v[82:83], s[0:1]
	v_fma_f64 v[127:128], v[109:110], s[4:5], -v[127:128]
	v_fma_f64 v[137:138], v[95:96], s[28:29], v[129:130]
	v_add_f64 v[70:71], v[4:5], v[70:71]
	v_add_f64 v[52:53], v[58:59], v[52:53]
	v_fma_f64 v[58:59], v[107:108], s[4:5], v[135:136]
	v_add_f64 v[56:57], v[115:116], v[56:57]
	v_add_f64 v[72:73], v[0:1], v[72:73]
	v_mul_f64 v[117:118], v[99:100], s[22:23]
	v_mul_f64 v[141:142], v[78:79], s[8:9]
	v_fma_f64 v[143:144], v[93:94], s[14:15], v[131:132]
	v_add_f64 v[137:138], v[4:5], v[137:138]
	v_mul_f64 v[145:146], v[111:112], s[24:25]
	v_fma_f64 v[147:148], v[113:114], s[0:1], v[139:140]
	v_add_f64 v[58:59], v[0:1], v[58:59]
	v_fma_f64 v[125:126], v[101:102], s[12:13], -v[125:126]
	v_add_f64 v[56:57], v[127:128], v[56:57]
	v_add_f64 v[64:65], v[64:65], v[70:71]
	;; [unrolled: 1-line block ×3, first 2 shown]
	v_mul_f64 v[54:55], v[74:75], s[0:1]
	v_fma_f64 v[62:63], v[18:19], s[0:1], v[117:118]
	v_fma_f64 v[123:124], v[32:33], s[18:19], v[123:124]
	v_mul_f64 v[115:116], v[76:77], s[2:3]
	v_fma_f64 v[149:150], v[80:81], s[26:27], v[141:142]
	v_add_f64 v[137:138], v[143:144], v[137:138]
	v_mul_f64 v[143:144], v[103:104], s[16:17]
	v_fma_f64 v[151:152], v[109:110], s[8:9], v[145:146]
	v_add_f64 v[58:59], v[147:148], v[58:59]
	v_fma_f64 v[117:118], v[18:19], s[0:1], -v[117:118]
	v_add_f64 v[56:57], v[125:126], v[56:57]
	v_add_f64 v[64:65], v[91:92], v[64:65]
	;; [unrolled: 1-line block ×3, first 2 shown]
	v_fma_f64 v[133:134], v[16:17], s[14:15], v[54:55]
	v_mul_f64 v[127:128], v[74:75], s[12:13]
	v_fma_f64 v[147:148], v[32:33], s[20:21], v[115:116]
	v_add_f64 v[137:138], v[149:150], v[137:138]
	v_fma_f64 v[153:154], v[101:102], s[2:3], v[143:144]
	v_add_f64 v[58:59], v[151:152], v[58:59]
	;; [unrolled: 2-line block ×3, first 2 shown]
	v_add_f64 v[56:57], v[117:118], v[56:57]
	v_mul_f64 v[117:118], v[60:61], s[12:13]
	v_mul_f64 v[91:92], v[97:98], s[18:19]
	v_add_f64 v[64:65], v[84:85], v[64:65]
	v_add_f64 v[66:67], v[86:87], v[66:67]
	v_fma_f64 v[125:126], v[16:17], s[18:19], v[127:128]
	v_add_f64 v[137:138], v[147:148], v[137:138]
	v_add_f64 v[153:154], v[153:154], v[58:59]
	;; [unrolled: 1-line block ×5, first 2 shown]
	v_fma_f64 v[119:120], v[95:96], s[6:7], v[129:130]
	v_fma_f64 v[121:122], v[16:17], s[30:31], v[127:128]
	v_fma_f64 v[123:124], v[107:108], s[4:5], -v[135:136]
	v_mul_f64 v[82:83], v[82:83], s[4:5]
	v_fma_f64 v[127:128], v[95:96], s[30:31], v[117:118]
	v_mul_f64 v[84:85], v[105:106], s[6:7]
	v_fma_f64 v[86:87], v[107:108], s[12:13], v[91:92]
	v_fma_f64 v[95:96], v[95:96], s[18:19], v[117:118]
	v_fma_f64 v[91:92], v[107:108], s[12:13], -v[91:92]
	v_add_f64 v[28:29], v[28:29], v[64:65]
	v_add_f64 v[30:31], v[30:31], v[66:67]
	;; [unrolled: 1-line block ×3, first 2 shown]
	v_fma_f64 v[125:126], v[93:94], s[22:23], v[131:132]
	v_add_f64 v[119:120], v[4:5], v[119:120]
	v_fma_f64 v[131:132], v[113:114], s[0:1], -v[139:140]
	v_add_f64 v[123:124], v[0:1], v[123:124]
	v_mul_f64 v[78:79], v[78:79], s[2:3]
	v_fma_f64 v[133:134], v[93:94], s[28:29], v[82:83]
	v_add_f64 v[127:128], v[4:5], v[127:128]
	v_mul_f64 v[105:106], v[111:112], s[20:21]
	v_fma_f64 v[64:65], v[113:114], s[4:5], v[84:85]
	v_add_f64 v[66:67], v[0:1], v[86:87]
	v_fma_f64 v[82:83], v[93:94], s[6:7], v[82:83]
	v_add_f64 v[4:5], v[4:5], v[95:96]
	v_fma_f64 v[84:85], v[113:114], s[4:5], -v[84:85]
	v_add_f64 v[0:1], v[0:1], v[91:92]
	v_add_f64 v[24:25], v[24:25], v[28:29]
	;; [unrolled: 1-line block ×4, first 2 shown]
	v_fma_f64 v[125:126], v[109:110], s[8:9], -v[145:146]
	v_add_f64 v[123:124], v[131:132], v[123:124]
	v_mul_f64 v[76:77], v[76:77], s[0:1]
	v_mul_f64 v[103:104], v[103:104], s[22:23]
	v_fma_f64 v[28:29], v[109:110], s[2:3], v[105:106]
	v_add_f64 v[30:31], v[64:65], v[66:67]
	v_fma_f64 v[64:65], v[80:81], s[20:21], v[78:79]
	v_add_f64 v[4:5], v[82:83], v[4:5]
	v_fma_f64 v[66:67], v[109:110], s[2:3], -v[105:106]
	v_add_f64 v[0:1], v[84:85], v[0:1]
	v_add_f64 v[20:21], v[20:21], v[24:25]
	;; [unrolled: 1-line block ×3, first 2 shown]
	v_fma_f64 v[129:130], v[80:81], s[24:25], v[141:142]
	v_mul_f64 v[149:150], v[99:100], s[30:31]
	v_fma_f64 v[70:71], v[101:102], s[2:3], -v[143:144]
	v_add_f64 v[72:73], v[125:126], v[123:124]
	v_mul_f64 v[74:75], v[74:75], s[8:9]
	v_mul_f64 v[99:100], v[99:100], s[26:27]
	v_fma_f64 v[24:25], v[101:102], s[0:1], v[103:104]
	v_add_f64 v[26:27], v[28:29], v[30:31]
	v_fma_f64 v[28:29], v[32:33], s[22:23], v[76:77]
	v_add_f64 v[4:5], v[64:65], v[4:5]
	v_fma_f64 v[30:31], v[101:102], s[0:1], -v[103:104]
	v_add_f64 v[0:1], v[66:67], v[0:1]
	v_add_f64 v[12:13], v[12:13], v[20:21]
	;; [unrolled: 1-line block ×3, first 2 shown]
	v_fma_f64 v[115:116], v[32:33], s[16:17], v[115:116]
	v_add_f64 v[119:120], v[129:130], v[119:120]
	v_fma_f64 v[131:132], v[80:81], s[16:17], v[78:79]
	v_add_f64 v[127:128], v[133:134], v[127:128]
	v_add_f64 v[70:71], v[70:71], v[72:73]
	v_fma_f64 v[72:73], v[16:17], s[24:25], v[74:75]
	v_add_f64 v[22:23], v[24:25], v[26:27]
	v_fma_f64 v[16:17], v[16:17], s[26:27], v[74:75]
	v_add_f64 v[4:5], v[28:29], v[4:5]
	v_fma_f64 v[24:25], v[18:19], s[8:9], -v[99:100]
	v_add_f64 v[0:1], v[30:31], v[0:1]
	v_add_f64 v[26:27], v[10:11], v[12:13]
	;; [unrolled: 1-line block ×4, first 2 shown]
	v_fma_f64 v[68:69], v[18:19], s[12:13], -v[149:150]
	v_fma_f64 v[123:124], v[32:33], s[14:15], v[76:77]
	v_add_f64 v[125:126], v[131:132], v[127:128]
	v_fma_f64 v[147:148], v[18:19], s[12:13], v[149:150]
	v_fma_f64 v[20:21], v[18:19], s[8:9], v[99:100]
	v_add_f64 v[18:19], v[16:17], v[4:5]
	v_add_f64 v[16:17], v[24:25], v[0:1]
	v_lshlrev_b64 v[0:1], 4, v[42:43]
	v_add_f64 v[4:5], v[6:7], v[26:27]
	v_add_f64 v[2:3], v[2:3], v[28:29]
	v_mov_b32_e32 v6, s11
	v_add_co_u32_e32 v7, vcc, s10, v0
	v_addc_co_u32_e32 v6, vcc, v6, v1, vcc
	v_lshlrev_b64 v[0:1], 4, v[88:89]
	v_add_f64 v[10:11], v[121:122], v[115:116]
	v_add_f64 v[8:9], v[68:69], v[70:71]
	v_mov_b32_e32 v91, 0
	v_add_co_u32_e32 v7, vcc, v7, v0
	v_add_f64 v[97:98], v[123:124], v[125:126]
	v_addc_co_u32_e32 v6, vcc, v6, v1, vcc
	v_lshlrev_b64 v[0:1], 4, v[90:91]
	s_movk_i32 s0, 0x1000
	v_add_co_u32_e32 v0, vcc, v7, v0
	v_addc_co_u32_e32 v1, vcc, v6, v1, vcc
	global_store_dwordx4 v[0:1], v[2:5], off
	global_store_dwordx4 v[0:1], v[16:19], off offset:2720
	v_add_co_u32_e32 v2, vcc, s0, v0
	v_addc_co_u32_e32 v3, vcc, 0, v1, vcc
	s_movk_i32 s0, 0x2000
	global_store_dwordx4 v[2:3], v[8:11], off offset:1344
	global_store_dwordx4 v[2:3], v[56:59], off offset:4064
	v_add_co_u32_e32 v2, vcc, s0, v0
	v_addc_co_u32_e32 v3, vcc, 0, v1, vcc
	s_movk_i32 s0, 0x3000
	v_add_f64 v[14:15], v[72:73], v[97:98]
	v_add_f64 v[12:13], v[20:21], v[22:23]
	global_store_dwordx4 v[2:3], v[48:51], off offset:2688
	v_add_co_u32_e32 v2, vcc, s0, v0
	v_add_f64 v[60:61], v[147:148], v[153:154]
	v_addc_co_u32_e32 v3, vcc, 0, v1, vcc
	s_movk_i32 s0, 0x4000
	global_store_dwordx4 v[2:3], v[38:41], off offset:1312
	global_store_dwordx4 v[2:3], v[34:37], off offset:4032
	v_add_co_u32_e32 v2, vcc, s0, v0
	v_addc_co_u32_e32 v3, vcc, 0, v1, vcc
	global_store_dwordx4 v[2:3], v[44:47], off offset:2656
	v_add_co_u32_e32 v2, vcc, 0x5000, v0
	v_addc_co_u32_e32 v3, vcc, 0, v1, vcc
	v_add_co_u32_e32 v0, vcc, 0x6000, v0
	v_addc_co_u32_e32 v1, vcc, 0, v1, vcc
	global_store_dwordx4 v[2:3], v[52:55], off offset:1280
	global_store_dwordx4 v[2:3], v[60:63], off offset:4000
	;; [unrolled: 1-line block ×3, first 2 shown]
	s_endpgm
	.section	.rodata,"a",@progbits
	.p2align	6, 0x0
	.amdhsa_kernel fft_rtc_fwd_len1870_factors_17_10_11_wgs_187_tpt_187_halfLds_dp_op_CI_CI_unitstride_sbrr_dirReg
		.amdhsa_group_segment_fixed_size 0
		.amdhsa_private_segment_fixed_size 0
		.amdhsa_kernarg_size 104
		.amdhsa_user_sgpr_count 6
		.amdhsa_user_sgpr_private_segment_buffer 1
		.amdhsa_user_sgpr_dispatch_ptr 0
		.amdhsa_user_sgpr_queue_ptr 0
		.amdhsa_user_sgpr_kernarg_segment_ptr 1
		.amdhsa_user_sgpr_dispatch_id 0
		.amdhsa_user_sgpr_flat_scratch_init 0
		.amdhsa_user_sgpr_private_segment_size 0
		.amdhsa_uses_dynamic_stack 0
		.amdhsa_system_sgpr_private_segment_wavefront_offset 0
		.amdhsa_system_sgpr_workgroup_id_x 1
		.amdhsa_system_sgpr_workgroup_id_y 0
		.amdhsa_system_sgpr_workgroup_id_z 0
		.amdhsa_system_sgpr_workgroup_info 0
		.amdhsa_system_vgpr_workitem_id 0
		.amdhsa_next_free_vgpr 155
		.amdhsa_next_free_sgpr 58
		.amdhsa_reserve_vcc 1
		.amdhsa_reserve_flat_scratch 0
		.amdhsa_float_round_mode_32 0
		.amdhsa_float_round_mode_16_64 0
		.amdhsa_float_denorm_mode_32 3
		.amdhsa_float_denorm_mode_16_64 3
		.amdhsa_dx10_clamp 1
		.amdhsa_ieee_mode 1
		.amdhsa_fp16_overflow 0
		.amdhsa_exception_fp_ieee_invalid_op 0
		.amdhsa_exception_fp_denorm_src 0
		.amdhsa_exception_fp_ieee_div_zero 0
		.amdhsa_exception_fp_ieee_overflow 0
		.amdhsa_exception_fp_ieee_underflow 0
		.amdhsa_exception_fp_ieee_inexact 0
		.amdhsa_exception_int_div_zero 0
	.end_amdhsa_kernel
	.text
.Lfunc_end0:
	.size	fft_rtc_fwd_len1870_factors_17_10_11_wgs_187_tpt_187_halfLds_dp_op_CI_CI_unitstride_sbrr_dirReg, .Lfunc_end0-fft_rtc_fwd_len1870_factors_17_10_11_wgs_187_tpt_187_halfLds_dp_op_CI_CI_unitstride_sbrr_dirReg
                                        ; -- End function
	.section	.AMDGPU.csdata,"",@progbits
; Kernel info:
; codeLenInByte = 13628
; NumSgprs: 62
; NumVgprs: 155
; ScratchSize: 0
; MemoryBound: 1
; FloatMode: 240
; IeeeMode: 1
; LDSByteSize: 0 bytes/workgroup (compile time only)
; SGPRBlocks: 7
; VGPRBlocks: 38
; NumSGPRsForWavesPerEU: 62
; NumVGPRsForWavesPerEU: 155
; Occupancy: 1
; WaveLimiterHint : 1
; COMPUTE_PGM_RSRC2:SCRATCH_EN: 0
; COMPUTE_PGM_RSRC2:USER_SGPR: 6
; COMPUTE_PGM_RSRC2:TRAP_HANDLER: 0
; COMPUTE_PGM_RSRC2:TGID_X_EN: 1
; COMPUTE_PGM_RSRC2:TGID_Y_EN: 0
; COMPUTE_PGM_RSRC2:TGID_Z_EN: 0
; COMPUTE_PGM_RSRC2:TIDIG_COMP_CNT: 0
	.type	__hip_cuid_70cce2e67e08aa0c,@object ; @__hip_cuid_70cce2e67e08aa0c
	.section	.bss,"aw",@nobits
	.globl	__hip_cuid_70cce2e67e08aa0c
__hip_cuid_70cce2e67e08aa0c:
	.byte	0                               ; 0x0
	.size	__hip_cuid_70cce2e67e08aa0c, 1

	.ident	"AMD clang version 19.0.0git (https://github.com/RadeonOpenCompute/llvm-project roc-6.4.0 25133 c7fe45cf4b819c5991fe208aaa96edf142730f1d)"
	.section	".note.GNU-stack","",@progbits
	.addrsig
	.addrsig_sym __hip_cuid_70cce2e67e08aa0c
	.amdgpu_metadata
---
amdhsa.kernels:
  - .args:
      - .actual_access:  read_only
        .address_space:  global
        .offset:         0
        .size:           8
        .value_kind:     global_buffer
      - .offset:         8
        .size:           8
        .value_kind:     by_value
      - .actual_access:  read_only
        .address_space:  global
        .offset:         16
        .size:           8
        .value_kind:     global_buffer
      - .actual_access:  read_only
        .address_space:  global
        .offset:         24
        .size:           8
        .value_kind:     global_buffer
      - .actual_access:  read_only
        .address_space:  global
        .offset:         32
        .size:           8
        .value_kind:     global_buffer
      - .offset:         40
        .size:           8
        .value_kind:     by_value
      - .actual_access:  read_only
        .address_space:  global
        .offset:         48
        .size:           8
        .value_kind:     global_buffer
      - .actual_access:  read_only
        .address_space:  global
        .offset:         56
        .size:           8
        .value_kind:     global_buffer
      - .offset:         64
        .size:           4
        .value_kind:     by_value
      - .actual_access:  read_only
        .address_space:  global
        .offset:         72
        .size:           8
        .value_kind:     global_buffer
      - .actual_access:  read_only
        .address_space:  global
        .offset:         80
        .size:           8
        .value_kind:     global_buffer
      - .actual_access:  read_only
        .address_space:  global
        .offset:         88
        .size:           8
        .value_kind:     global_buffer
      - .actual_access:  write_only
        .address_space:  global
        .offset:         96
        .size:           8
        .value_kind:     global_buffer
    .group_segment_fixed_size: 0
    .kernarg_segment_align: 8
    .kernarg_segment_size: 104
    .language:       OpenCL C
    .language_version:
      - 2
      - 0
    .max_flat_workgroup_size: 187
    .name:           fft_rtc_fwd_len1870_factors_17_10_11_wgs_187_tpt_187_halfLds_dp_op_CI_CI_unitstride_sbrr_dirReg
    .private_segment_fixed_size: 0
    .sgpr_count:     62
    .sgpr_spill_count: 0
    .symbol:         fft_rtc_fwd_len1870_factors_17_10_11_wgs_187_tpt_187_halfLds_dp_op_CI_CI_unitstride_sbrr_dirReg.kd
    .uniform_work_group_size: 1
    .uses_dynamic_stack: false
    .vgpr_count:     155
    .vgpr_spill_count: 0
    .wavefront_size: 64
amdhsa.target:   amdgcn-amd-amdhsa--gfx906
amdhsa.version:
  - 1
  - 2
...

	.end_amdgpu_metadata
